;; amdgpu-corpus repo=ROCm/rocFFT kind=compiled arch=gfx1030 opt=O3
	.text
	.amdgcn_target "amdgcn-amd-amdhsa--gfx1030"
	.amdhsa_code_object_version 6
	.protected	fft_rtc_back_len3200_factors_10_10_4_4_2_wgs_160_tpt_160_halfLds_half_ip_CI_sbrr_dirReg ; -- Begin function fft_rtc_back_len3200_factors_10_10_4_4_2_wgs_160_tpt_160_halfLds_half_ip_CI_sbrr_dirReg
	.globl	fft_rtc_back_len3200_factors_10_10_4_4_2_wgs_160_tpt_160_halfLds_half_ip_CI_sbrr_dirReg
	.p2align	8
	.type	fft_rtc_back_len3200_factors_10_10_4_4_2_wgs_160_tpt_160_halfLds_half_ip_CI_sbrr_dirReg,@function
fft_rtc_back_len3200_factors_10_10_4_4_2_wgs_160_tpt_160_halfLds_half_ip_CI_sbrr_dirReg: ; @fft_rtc_back_len3200_factors_10_10_4_4_2_wgs_160_tpt_160_halfLds_half_ip_CI_sbrr_dirReg
; %bb.0:
	s_clause 0x2
	s_load_dwordx2 s[14:15], s[4:5], 0x18
	s_load_dwordx4 s[8:11], s[4:5], 0x0
	s_load_dwordx2 s[12:13], s[4:5], 0x50
	v_mul_u32_u24_e32 v1, 0x19a, v0
	v_mov_b32_e32 v3, 0
	v_add_nc_u32_sdwa v5, s6, v1 dst_sel:DWORD dst_unused:UNUSED_PAD src0_sel:DWORD src1_sel:WORD_1
	v_mov_b32_e32 v1, 0
	v_mov_b32_e32 v6, v3
	v_mov_b32_e32 v2, 0
	s_waitcnt lgkmcnt(0)
	s_load_dwordx2 s[2:3], s[14:15], 0x0
	v_cmp_lt_u64_e64 s0, s[10:11], 2
	s_and_b32 vcc_lo, exec_lo, s0
	s_cbranch_vccnz .LBB0_8
; %bb.1:
	s_load_dwordx2 s[0:1], s[4:5], 0x10
	v_mov_b32_e32 v1, 0
	s_add_u32 s6, s14, 8
	v_mov_b32_e32 v2, 0
	s_addc_u32 s7, s15, 0
	s_mov_b64 s[18:19], 1
	s_waitcnt lgkmcnt(0)
	s_add_u32 s16, s0, 8
	s_addc_u32 s17, s1, 0
.LBB0_2:                                ; =>This Inner Loop Header: Depth=1
	s_load_dwordx2 s[20:21], s[16:17], 0x0
                                        ; implicit-def: $vgpr7_vgpr8
	s_mov_b32 s0, exec_lo
	s_waitcnt lgkmcnt(0)
	v_or_b32_e32 v4, s21, v6
	v_cmpx_ne_u64_e32 0, v[3:4]
	s_xor_b32 s1, exec_lo, s0
	s_cbranch_execz .LBB0_4
; %bb.3:                                ;   in Loop: Header=BB0_2 Depth=1
	v_cvt_f32_u32_e32 v4, s20
	v_cvt_f32_u32_e32 v7, s21
	s_sub_u32 s0, 0, s20
	s_subb_u32 s22, 0, s21
	v_fmac_f32_e32 v4, 0x4f800000, v7
	v_rcp_f32_e32 v4, v4
	v_mul_f32_e32 v4, 0x5f7ffffc, v4
	v_mul_f32_e32 v7, 0x2f800000, v4
	v_trunc_f32_e32 v7, v7
	v_fmac_f32_e32 v4, 0xcf800000, v7
	v_cvt_u32_f32_e32 v7, v7
	v_cvt_u32_f32_e32 v4, v4
	v_mul_lo_u32 v8, s0, v7
	v_mul_hi_u32 v9, s0, v4
	v_mul_lo_u32 v10, s22, v4
	v_add_nc_u32_e32 v8, v9, v8
	v_mul_lo_u32 v9, s0, v4
	v_add_nc_u32_e32 v8, v8, v10
	v_mul_hi_u32 v10, v4, v9
	v_mul_lo_u32 v11, v4, v8
	v_mul_hi_u32 v12, v4, v8
	v_mul_hi_u32 v13, v7, v9
	v_mul_lo_u32 v9, v7, v9
	v_mul_hi_u32 v14, v7, v8
	v_mul_lo_u32 v8, v7, v8
	v_add_co_u32 v10, vcc_lo, v10, v11
	v_add_co_ci_u32_e32 v11, vcc_lo, 0, v12, vcc_lo
	v_add_co_u32 v9, vcc_lo, v10, v9
	v_add_co_ci_u32_e32 v9, vcc_lo, v11, v13, vcc_lo
	v_add_co_ci_u32_e32 v10, vcc_lo, 0, v14, vcc_lo
	v_add_co_u32 v8, vcc_lo, v9, v8
	v_add_co_ci_u32_e32 v9, vcc_lo, 0, v10, vcc_lo
	v_add_co_u32 v4, vcc_lo, v4, v8
	v_add_co_ci_u32_e32 v7, vcc_lo, v7, v9, vcc_lo
	v_mul_hi_u32 v8, s0, v4
	v_mul_lo_u32 v10, s22, v4
	v_mul_lo_u32 v9, s0, v7
	v_add_nc_u32_e32 v8, v8, v9
	v_mul_lo_u32 v9, s0, v4
	v_add_nc_u32_e32 v8, v8, v10
	v_mul_hi_u32 v10, v4, v9
	v_mul_lo_u32 v11, v4, v8
	v_mul_hi_u32 v12, v4, v8
	v_mul_hi_u32 v13, v7, v9
	v_mul_lo_u32 v9, v7, v9
	v_mul_hi_u32 v14, v7, v8
	v_mul_lo_u32 v8, v7, v8
	v_add_co_u32 v10, vcc_lo, v10, v11
	v_add_co_ci_u32_e32 v11, vcc_lo, 0, v12, vcc_lo
	v_add_co_u32 v9, vcc_lo, v10, v9
	v_add_co_ci_u32_e32 v9, vcc_lo, v11, v13, vcc_lo
	v_add_co_ci_u32_e32 v10, vcc_lo, 0, v14, vcc_lo
	v_add_co_u32 v8, vcc_lo, v9, v8
	v_add_co_ci_u32_e32 v9, vcc_lo, 0, v10, vcc_lo
	v_add_co_u32 v4, vcc_lo, v4, v8
	v_add_co_ci_u32_e32 v11, vcc_lo, v7, v9, vcc_lo
	v_mul_hi_u32 v13, v5, v4
	v_mad_u64_u32 v[9:10], null, v6, v4, 0
	v_mad_u64_u32 v[7:8], null, v5, v11, 0
	;; [unrolled: 1-line block ×3, first 2 shown]
	v_add_co_u32 v4, vcc_lo, v13, v7
	v_add_co_ci_u32_e32 v7, vcc_lo, 0, v8, vcc_lo
	v_add_co_u32 v4, vcc_lo, v4, v9
	v_add_co_ci_u32_e32 v4, vcc_lo, v7, v10, vcc_lo
	v_add_co_ci_u32_e32 v7, vcc_lo, 0, v12, vcc_lo
	v_add_co_u32 v4, vcc_lo, v4, v11
	v_add_co_ci_u32_e32 v9, vcc_lo, 0, v7, vcc_lo
	v_mul_lo_u32 v10, s21, v4
	v_mad_u64_u32 v[7:8], null, s20, v4, 0
	v_mul_lo_u32 v11, s20, v9
	v_sub_co_u32 v7, vcc_lo, v5, v7
	v_add3_u32 v8, v8, v11, v10
	v_sub_nc_u32_e32 v10, v6, v8
	v_subrev_co_ci_u32_e64 v10, s0, s21, v10, vcc_lo
	v_add_co_u32 v11, s0, v4, 2
	v_add_co_ci_u32_e64 v12, s0, 0, v9, s0
	v_sub_co_u32 v13, s0, v7, s20
	v_sub_co_ci_u32_e32 v8, vcc_lo, v6, v8, vcc_lo
	v_subrev_co_ci_u32_e64 v10, s0, 0, v10, s0
	v_cmp_le_u32_e32 vcc_lo, s20, v13
	v_cmp_eq_u32_e64 s0, s21, v8
	v_cndmask_b32_e64 v13, 0, -1, vcc_lo
	v_cmp_le_u32_e32 vcc_lo, s21, v10
	v_cndmask_b32_e64 v14, 0, -1, vcc_lo
	v_cmp_le_u32_e32 vcc_lo, s20, v7
	;; [unrolled: 2-line block ×3, first 2 shown]
	v_cndmask_b32_e64 v15, 0, -1, vcc_lo
	v_cmp_eq_u32_e32 vcc_lo, s21, v10
	v_cndmask_b32_e64 v7, v15, v7, s0
	v_cndmask_b32_e32 v10, v14, v13, vcc_lo
	v_add_co_u32 v13, vcc_lo, v4, 1
	v_add_co_ci_u32_e32 v14, vcc_lo, 0, v9, vcc_lo
	v_cmp_ne_u32_e32 vcc_lo, 0, v10
	v_cndmask_b32_e32 v8, v14, v12, vcc_lo
	v_cndmask_b32_e32 v10, v13, v11, vcc_lo
	v_cmp_ne_u32_e32 vcc_lo, 0, v7
	v_cndmask_b32_e32 v8, v9, v8, vcc_lo
	v_cndmask_b32_e32 v7, v4, v10, vcc_lo
.LBB0_4:                                ;   in Loop: Header=BB0_2 Depth=1
	s_andn2_saveexec_b32 s0, s1
	s_cbranch_execz .LBB0_6
; %bb.5:                                ;   in Loop: Header=BB0_2 Depth=1
	v_cvt_f32_u32_e32 v4, s20
	s_sub_i32 s1, 0, s20
	v_rcp_iflag_f32_e32 v4, v4
	v_mul_f32_e32 v4, 0x4f7ffffe, v4
	v_cvt_u32_f32_e32 v4, v4
	v_mul_lo_u32 v7, s1, v4
	v_mul_hi_u32 v7, v4, v7
	v_add_nc_u32_e32 v4, v4, v7
	v_mul_hi_u32 v4, v5, v4
	v_mul_lo_u32 v7, v4, s20
	v_add_nc_u32_e32 v8, 1, v4
	v_sub_nc_u32_e32 v7, v5, v7
	v_subrev_nc_u32_e32 v9, s20, v7
	v_cmp_le_u32_e32 vcc_lo, s20, v7
	v_cndmask_b32_e32 v7, v7, v9, vcc_lo
	v_cndmask_b32_e32 v4, v4, v8, vcc_lo
	v_cmp_le_u32_e32 vcc_lo, s20, v7
	v_add_nc_u32_e32 v8, 1, v4
	v_cndmask_b32_e32 v7, v4, v8, vcc_lo
	v_mov_b32_e32 v8, v3
.LBB0_6:                                ;   in Loop: Header=BB0_2 Depth=1
	s_or_b32 exec_lo, exec_lo, s0
	s_load_dwordx2 s[0:1], s[6:7], 0x0
	v_mul_lo_u32 v4, v8, s20
	v_mul_lo_u32 v11, v7, s21
	v_mad_u64_u32 v[9:10], null, v7, s20, 0
	s_add_u32 s18, s18, 1
	s_addc_u32 s19, s19, 0
	s_add_u32 s6, s6, 8
	s_addc_u32 s7, s7, 0
	;; [unrolled: 2-line block ×3, first 2 shown]
	v_add3_u32 v4, v10, v11, v4
	v_sub_co_u32 v5, vcc_lo, v5, v9
	v_sub_co_ci_u32_e32 v4, vcc_lo, v6, v4, vcc_lo
	s_waitcnt lgkmcnt(0)
	v_mul_lo_u32 v6, s1, v5
	v_mul_lo_u32 v4, s0, v4
	v_mad_u64_u32 v[1:2], null, s0, v5, v[1:2]
	v_cmp_ge_u64_e64 s0, s[18:19], s[10:11]
	s_and_b32 vcc_lo, exec_lo, s0
	v_add3_u32 v2, v6, v2, v4
	s_cbranch_vccnz .LBB0_9
; %bb.7:                                ;   in Loop: Header=BB0_2 Depth=1
	v_mov_b32_e32 v5, v7
	v_mov_b32_e32 v6, v8
	s_branch .LBB0_2
.LBB0_8:
	v_mov_b32_e32 v8, v6
	v_mov_b32_e32 v7, v5
.LBB0_9:
	s_lshl_b64 s[0:1], s[10:11], 3
	v_mul_hi_u32 v3, 0x199999a, v0
	s_add_u32 s0, s14, s0
	s_addc_u32 s1, s15, s1
	s_load_dwordx2 s[4:5], s[4:5], 0x20
	s_load_dwordx2 s[0:1], s[0:1], 0x0
                                        ; implicit-def: $vgpr20
                                        ; implicit-def: $vgpr21
                                        ; implicit-def: $vgpr23
                                        ; implicit-def: $vgpr25
                                        ; implicit-def: $vgpr28
                                        ; implicit-def: $vgpr24
                                        ; implicit-def: $vgpr22
                                        ; implicit-def: $vgpr26
                                        ; implicit-def: $vgpr30
	v_mul_u32_u24_e32 v3, 0xa0, v3
	v_sub_nc_u32_e32 v16, v0, v3
	v_add_nc_u32_e32 v41, 0xa0, v16
	v_add_nc_u32_e32 v39, 0x140, v16
	;; [unrolled: 1-line block ×4, first 2 shown]
	v_or_b32_e32 v32, 0x500, v16
	s_waitcnt lgkmcnt(0)
	v_cmp_gt_u64_e32 vcc_lo, s[4:5], v[7:8]
	v_mul_lo_u32 v3, s0, v8
	v_mul_lo_u32 v4, s1, v7
	v_mad_u64_u32 v[0:1], null, s0, v7, v[1:2]
	v_cmp_le_u64_e64 s0, s[4:5], v[7:8]
	v_add_nc_u32_e32 v40, 0x320, v16
	v_add_nc_u32_e32 v42, 0x1e0, v16
	;; [unrolled: 1-line block ×4, first 2 shown]
	v_add3_u32 v1, v4, v1, v3
	s_and_saveexec_b32 s1, s0
	s_xor_b32 s0, exec_lo, s1
; %bb.10:
	v_add_nc_u32_e32 v20, 0xa0, v16
	v_add_nc_u32_e32 v21, 0x140, v16
	;; [unrolled: 1-line block ×4, first 2 shown]
	v_or_b32_e32 v28, 0x500, v16
	v_add_nc_u32_e32 v24, 0x320, v16
	v_add_nc_u32_e32 v22, 0x1e0, v16
	v_add_nc_u32_e32 v26, 0x460, v16
	v_add_nc_u32_e32 v30, 0x5a0, v16
; %bb.11:
	s_or_saveexec_b32 s1, s0
	v_lshlrev_b64 v[18:19], 2, v[0:1]
	v_add_nc_u32_e32 v47, 0x640, v16
	v_add_nc_u32_e32 v44, 0x780, v16
	;; [unrolled: 1-line block ×7, first 2 shown]
                                        ; implicit-def: $vgpr53
                                        ; implicit-def: $vgpr4
                                        ; implicit-def: $vgpr56
                                        ; implicit-def: $vgpr12
                                        ; implicit-def: $vgpr63
                                        ; implicit-def: $vgpr57
                                        ; implicit-def: $vgpr62
                                        ; implicit-def: $vgpr14
                                        ; implicit-def: $vgpr64
                                        ; implicit-def: $vgpr54
                                        ; implicit-def: $vgpr59
                                        ; implicit-def: $vgpr15
                                        ; implicit-def: $vgpr65
                                        ; implicit-def: $vgpr55
                                        ; implicit-def: $vgpr60
                                        ; implicit-def: $vgpr27
                                        ; implicit-def: $vgpr66
                                        ; implicit-def: $vgpr67
                                        ; implicit-def: $vgpr58
                                        ; implicit-def: $vgpr61
                                        ; implicit-def: $vgpr2
                                        ; implicit-def: $vgpr0
                                        ; implicit-def: $vgpr3
                                        ; implicit-def: $vgpr1
                                        ; implicit-def: $vgpr31
                                        ; implicit-def: $vgpr48
                                        ; implicit-def: $vgpr13
                                        ; implicit-def: $vgpr5
                                        ; implicit-def: $vgpr50
                                        ; implicit-def: $vgpr29
                                        ; implicit-def: $vgpr10
                                        ; implicit-def: $vgpr6
                                        ; implicit-def: $vgpr49
                                        ; implicit-def: $vgpr17
                                        ; implicit-def: $vgpr9
                                        ; implicit-def: $vgpr8
                                        ; implicit-def: $vgpr51
                                        ; implicit-def: $vgpr52
                                        ; implicit-def: $vgpr7
                                        ; implicit-def: $vgpr11
	s_xor_b32 exec_lo, exec_lo, s1
	s_cbranch_execz .LBB0_13
; %bb.12:
	v_mad_u64_u32 v[0:1], null, s2, v16, 0
	v_mad_u64_u32 v[2:3], null, s2, v39, 0
	;; [unrolled: 1-line block ×3, first 2 shown]
	v_add_co_u32 v53, s0, s12, v18
	v_add_co_ci_u32_e64 v56, s0, s13, v19, s0
	v_mad_u64_u32 v[6:7], null, s3, v16, v[1:2]
	v_mov_b32_e32 v1, v5
	v_mad_u64_u32 v[7:8], null, s2, v38, 0
	v_mad_u64_u32 v[9:10], null, s3, v39, v[3:4]
	;; [unrolled: 1-line block ×3, first 2 shown]
	v_mov_b32_e32 v1, v6
	v_mad_u64_u32 v[11:12], null, s2, v32, 0
	v_mov_b32_e32 v6, v8
	v_mov_b32_e32 v3, v9
	v_lshlrev_b64 v[0:1], 2, v[0:1]
	v_mov_b32_e32 v5, v10
	v_mad_u64_u32 v[22:23], null, s2, v43, 0
	v_lshlrev_b64 v[2:3], 2, v[2:3]
	v_mad_u64_u32 v[8:9], null, s3, v38, v[6:7]
	v_mad_u64_u32 v[9:10], null, s2, v47, 0
	v_add_co_u32 v0, s0, v53, v0
	v_mov_b32_e32 v6, v12
	v_lshlrev_b64 v[4:5], 2, v[4:5]
	v_add_co_ci_u32_e64 v1, s0, v56, v1, s0
	v_add_co_u32 v2, s0, v53, v2
	v_add_co_ci_u32_e64 v3, s0, v56, v3, s0
	v_mad_u64_u32 v[12:13], null, s3, v32, v[6:7]
	v_mov_b32_e32 v6, v10
	v_mad_u64_u32 v[13:14], null, s2, v44, 0
	v_add_co_u32 v20, s0, v53, v4
	v_add_co_ci_u32_e64 v21, s0, v56, v5, s0
	v_lshlrev_b64 v[4:5], 2, v[7:8]
	v_mad_u64_u32 v[6:7], null, s3, v47, v[6:7]
	v_mov_b32_e32 v7, v14
	v_mad_u64_u32 v[28:29], null, s2, v34, 0
	v_add_co_u32 v24, s0, v53, v4
	v_add_co_ci_u32_e64 v25, s0, v56, v5, s0
	v_lshlrev_b64 v[4:5], 2, v[11:12]
	v_mov_b32_e32 v10, v6
	v_mad_u64_u32 v[6:7], null, s3, v44, v[7:8]
	v_mov_b32_e32 v7, v23
	v_or_b32_e32 v12, 0xa00, v16
	v_add_co_u32 v26, s0, v53, v4
	v_add_co_ci_u32_e64 v27, s0, v56, v5, s0
	v_lshlrev_b64 v[4:5], 2, v[9:10]
	v_mad_u64_u32 v[7:8], null, s3, v43, v[7:8]
	v_mov_b32_e32 v14, v6
	v_mad_u64_u32 v[8:9], null, s2, v12, 0
	v_add_co_u32 v10, s0, v53, v4
	v_add_co_ci_u32_e64 v11, s0, v56, v5, s0
	v_lshlrev_b64 v[4:5], 2, v[13:14]
	v_mov_b32_e32 v23, v7
	v_mov_b32_e32 v6, v9
	v_mad_u64_u32 v[50:51], null, s2, v42, 0
	v_add_nc_u32_e32 v13, 0xbe0, v16
	v_add_co_u32 v30, s0, v53, v4
	v_add_co_ci_u32_e64 v31, s0, v56, v5, s0
	v_lshlrev_b64 v[4:5], 2, v[22:23]
	v_mad_u64_u32 v[6:7], null, s3, v12, v[6:7]
	v_mad_u64_u32 v[22:23], null, s2, v41, 0
	v_mov_b32_e32 v7, v29
	v_add_co_u32 v48, s0, v53, v4
	v_add_co_ci_u32_e64 v49, s0, v56, v5, s0
	s_clause 0x7
	global_load_dword v4, v[0:1], off
	global_load_dword v12, v[2:3], off
	;; [unrolled: 1-line block ×8, first 2 shown]
	v_mov_b32_e32 v9, v6
	v_mad_u64_u32 v[5:6], null, s3, v34, v[7:8]
	v_mov_b32_e32 v6, v23
	v_mad_u64_u32 v[30:31], null, s2, v45, 0
	v_lshlrev_b64 v[0:1], 2, v[8:9]
	v_mad_u64_u32 v[9:10], null, s2, v36, 0
	v_mad_u64_u32 v[2:3], null, s3, v41, v[6:7]
	v_mov_b32_e32 v29, v5
	v_mov_b32_e32 v3, v51
	v_mad_u64_u32 v[5:6], null, s2, v40, 0
	v_add_co_u32 v0, s0, v53, v0
	v_mov_b32_e32 v23, v2
	v_lshlrev_b64 v[7:8], 2, v[28:29]
	v_add_co_ci_u32_e64 v1, s0, v56, v1, s0
	v_mad_u64_u32 v[28:29], null, s2, v46, 0
	v_lshlrev_b64 v[20:21], 2, v[22:23]
	v_mad_u64_u32 v[22:23], null, s2, v33, 0
	v_add_co_u32 v7, s0, v53, v7
	v_add_co_ci_u32_e64 v8, s0, v56, v8, s0
	v_add_co_u32 v20, s0, v53, v20
	v_add_co_ci_u32_e64 v21, s0, v56, v21, s0
	v_mad_u64_u32 v[58:59], null, s2, v13, 0
	s_waitcnt vmcnt(7)
	v_mad_u64_u32 v[2:3], null, s3, v42, v[3:4]
	v_mov_b32_e32 v3, v6
	s_waitcnt vmcnt(5)
	v_lshrrev_b32_e32 v63, 16, v57
	s_waitcnt vmcnt(4)
	v_lshrrev_b32_e32 v62, 16, v14
	;; [unrolled: 2-line block ×4, first 2 shown]
	v_mov_b32_e32 v51, v2
	v_mad_u64_u32 v[2:3], null, s3, v40, v[3:4]
	v_mov_b32_e32 v3, v10
	v_lshlrev_b64 v[10:11], 2, v[50:51]
	v_mad_u64_u32 v[51:52], null, s2, v35, 0
	v_mad_u64_u32 v[24:25], null, s3, v36, v[3:4]
	v_mov_b32_e32 v6, v2
	v_mov_b32_e32 v2, v23
	v_add_co_u32 v25, s0, v53, v10
	v_add_co_ci_u32_e64 v26, s0, v56, v11, s0
	v_mad_u64_u32 v[2:3], null, s3, v33, v[2:3]
	v_mov_b32_e32 v3, v29
	v_add_nc_u32_e32 v11, 0x960, v16
	v_mov_b32_e32 v10, v24
	v_lshlrev_b64 v[5:6], 2, v[5:6]
	v_mov_b32_e32 v24, v40
	v_mad_u64_u32 v[48:49], null, s3, v46, v[3:4]
	v_mov_b32_e32 v23, v2
	v_mov_b32_e32 v2, v31
	v_mad_u64_u32 v[49:50], null, s2, v11, 0
	v_lshlrev_b64 v[9:10], 2, v[9:10]
	v_add_co_u32 v5, s0, v53, v5
	v_mad_u64_u32 v[2:3], null, s3, v45, v[2:3]
	v_lshlrev_b64 v[22:23], 2, v[22:23]
	v_add_co_ci_u32_e64 v6, s0, v56, v6, s0
	v_mov_b32_e32 v29, v48
	v_add_co_u32 v9, s0, v53, v9
	v_mov_b32_e32 v31, v2
	v_mov_b32_e32 v2, v50
	v_add_co_ci_u32_e64 v10, s0, v56, v10, s0
	v_add_co_u32 v22, s0, v53, v22
	v_mad_u64_u32 v[2:3], null, s3, v11, v[2:3]
	v_mov_b32_e32 v3, v52
	v_lshlrev_b64 v[30:31], 2, v[30:31]
	v_lshlrev_b64 v[28:29], 2, v[28:29]
	v_add_co_ci_u32_e64 v23, s0, v56, v23, s0
	v_mov_b32_e32 v50, v2
	v_mad_u64_u32 v[2:3], null, s3, v35, v[3:4]
	v_mov_b32_e32 v3, v59
	v_add_co_u32 v30, s0, v53, v30
	v_lshlrev_b64 v[48:49], 2, v[49:50]
	v_add_co_ci_u32_e64 v31, s0, v56, v31, s0
	v_mad_u64_u32 v[59:60], null, s3, v13, v[3:4]
	v_mov_b32_e32 v52, v2
	v_add_co_u32 v2, s0, v53, v28
	v_add_co_ci_u32_e64 v3, s0, v56, v29, s0
	v_lshlrev_b64 v[28:29], 2, v[51:52]
	global_load_dword v17, v[30:31], off
	v_add_co_u32 v30, s0, v53, v48
	v_add_co_ci_u32_e64 v31, s0, v56, v49, s0
	v_lshlrev_b64 v[48:49], 2, v[58:59]
	v_add_co_u32 v50, s0, v53, v28
	v_add_co_ci_u32_e64 v51, s0, v56, v29, s0
	v_mov_b32_e32 v28, v32
	v_add_co_u32 v58, s0, v53, v48
	v_add_co_ci_u32_e64 v59, s0, v56, v49, s0
	s_clause 0xa
	global_load_dword v67, v[0:1], off
	global_load_dword v61, v[7:8], off
	;; [unrolled: 1-line block ×11, first 2 shown]
	v_mov_b32_e32 v30, v33
	v_mov_b32_e32 v26, v36
	;; [unrolled: 1-line block ×6, first 2 shown]
	v_lshrrev_b32_e32 v53, 16, v4
	v_lshrrev_b32_e32 v56, 16, v12
	;; [unrolled: 1-line block ×3, first 2 shown]
	s_waitcnt vmcnt(12)
	v_lshrrev_b32_e32 v60, 16, v27
	v_mov_b32_e32 v20, v41
	s_waitcnt vmcnt(11)
	v_lshrrev_b32_e32 v49, 16, v17
	s_waitcnt vmcnt(10)
	v_lshrrev_b32_e32 v66, 16, v67
	;; [unrolled: 2-line block ×12, first 2 shown]
.LBB0_13:
	s_or_b32 exec_lo, exec_lo, s1
	v_add_f16_e32 v68, v54, v55
	v_sub_f16_e32 v70, v63, v66
	v_sub_f16_e32 v72, v57, v54
	v_sub_f16_e32 v73, v67, v55
	v_add_f16_e32 v74, v57, v67
	v_fma_f16 v68, -0.5, v68, v4
	v_add_f16_e32 v69, v4, v57
	v_sub_f16_e32 v71, v64, v65
	v_sub_f16_e32 v75, v54, v57
	v_add_f16_e32 v72, v72, v73
	v_fmamk_f16 v76, v70, 0xbb9c, v68
	v_fmac_f16_e32 v4, -0.5, v74
	v_fmac_f16_e32 v68, 0x3b9c, v70
	v_sub_f16_e32 v73, v55, v67
	v_add_f16_e32 v69, v69, v54
	v_fmac_f16_e32 v76, 0xb8b4, v71
	v_fmamk_f16 v74, v71, 0x3b9c, v4
	v_fmac_f16_e32 v68, 0x38b4, v71
	v_add_f16_e32 v73, v75, v73
	v_add_f16_e32 v75, v53, v63
	v_fmac_f16_e32 v4, 0xbb9c, v71
	v_add_f16_e32 v71, v64, v65
	v_add_f16_e32 v69, v69, v55
	v_fmac_f16_e32 v76, 0x34f2, v72
	v_add_f16_e32 v75, v75, v64
	v_sub_f16_e32 v57, v57, v67
	v_fma_f16 v71, -0.5, v71, v53
	v_fmac_f16_e32 v68, 0x34f2, v72
	v_add_f16_e32 v72, v63, v66
	v_add_f16_e32 v69, v69, v67
	v_fmac_f16_e32 v74, 0xb8b4, v70
	v_fmac_f16_e32 v4, 0x38b4, v70
	v_add_f16_e32 v67, v75, v65
	v_fmamk_f16 v70, v57, 0x3b9c, v71
	v_sub_f16_e32 v54, v54, v55
	v_sub_f16_e32 v55, v63, v64
	;; [unrolled: 1-line block ×3, first 2 shown]
	v_fmac_f16_e32 v53, -0.5, v72
	v_fmac_f16_e32 v71, 0xbb9c, v57
	v_sub_f16_e32 v63, v64, v63
	v_sub_f16_e32 v64, v65, v66
	v_fmac_f16_e32 v70, 0x38b4, v54
	v_add_f16_e32 v55, v55, v75
	v_fmamk_f16 v72, v54, 0xbb9c, v53
	v_fmac_f16_e32 v71, 0xb8b4, v54
	v_add_f16_e32 v63, v63, v64
	v_fmac_f16_e32 v53, 0x3b9c, v54
	v_add_f16_e32 v64, v15, v27
	;; [unrolled: 2-line block ×3, first 2 shown]
	v_fmac_f16_e32 v72, 0x38b4, v57
	v_fmac_f16_e32 v71, 0x34f2, v55
	;; [unrolled: 1-line block ×3, first 2 shown]
	v_add_f16_e32 v55, v14, v61
	v_fma_f16 v57, -0.5, v64, v12
	v_sub_f16_e32 v64, v62, v58
	v_add_f16_e32 v67, v67, v66
	v_add_f16_e32 v54, v65, v15
	v_fmac_f16_e32 v72, 0x34f2, v63
	v_fmac_f16_e32 v53, 0x34f2, v63
	v_sub_f16_e32 v63, v59, v60
	v_fmac_f16_e32 v12, -0.5, v55
	v_sub_f16_e32 v55, v14, v15
	v_sub_f16_e32 v65, v61, v27
	v_fmamk_f16 v66, v64, 0xbb9c, v57
	v_fmac_f16_e32 v57, 0x3b9c, v64
	v_fmac_f16_e32 v74, 0x34f2, v73
	v_fmac_f16_e32 v4, 0x34f2, v73
	v_add_f16_e32 v55, v55, v65
	v_fmac_f16_e32 v66, 0xb8b4, v63
	v_fmac_f16_e32 v57, 0x38b4, v63
	v_add_f16_e32 v54, v54, v27
	v_fmamk_f16 v73, v63, 0x3b9c, v12
	v_sub_f16_e32 v75, v15, v14
	v_sub_f16_e32 v65, v27, v61
	v_fmac_f16_e32 v12, 0xbb9c, v63
	v_fmac_f16_e32 v66, 0x34f2, v55
	v_add_f16_e32 v63, v59, v60
	v_fmac_f16_e32 v57, 0x34f2, v55
	v_add_f16_e32 v55, v62, v58
	v_add_f16_e32 v54, v54, v61
	v_fmac_f16_e32 v73, 0xb8b4, v64
	v_add_f16_e32 v65, v75, v65
	v_fmac_f16_e32 v12, 0x38b4, v64
	v_fma_f16 v63, -0.5, v63, v56
	v_sub_f16_e32 v14, v14, v61
	v_add_f16_e32 v61, v56, v62
	v_sub_f16_e32 v15, v15, v27
	v_fmac_f16_e32 v56, -0.5, v55
	v_fmac_f16_e32 v73, 0x34f2, v65
	v_fmac_f16_e32 v12, 0x34f2, v65
	v_fmamk_f16 v27, v14, 0x3b9c, v63
	v_sub_f16_e32 v55, v62, v59
	v_sub_f16_e32 v64, v58, v60
	v_fmamk_f16 v65, v15, 0xbb9c, v56
	v_sub_f16_e32 v62, v59, v62
	v_sub_f16_e32 v75, v60, v58
	v_fmac_f16_e32 v56, 0x3b9c, v15
	v_fmac_f16_e32 v63, 0xbb9c, v14
	v_add_f16_e32 v55, v55, v64
	v_fmac_f16_e32 v65, 0x38b4, v14
	v_add_f16_e32 v62, v62, v75
	v_fmac_f16_e32 v56, 0xb8b4, v14
	v_fmac_f16_e32 v63, 0xb8b4, v15
	;; [unrolled: 1-line block ×3, first 2 shown]
	v_add_f16_e32 v14, v61, v59
	v_fmac_f16_e32 v65, 0x34f2, v62
	v_fmac_f16_e32 v56, 0x34f2, v62
	;; [unrolled: 1-line block ×4, first 2 shown]
	v_add_f16_e32 v14, v14, v60
	v_mul_f16_e32 v59, 0xbb9c, v65
	v_mul_f16_e32 v60, 0xbb9c, v56
	;; [unrolled: 1-line block ×5, first 2 shown]
	v_add_f16_e32 v14, v14, v58
	v_fmac_f16_e32 v59, 0x34f2, v73
	v_fmac_f16_e32 v60, 0xb4f2, v12
	;; [unrolled: 1-line block ×3, first 2 shown]
	v_mul_f16_e32 v27, 0x3a79, v27
	v_mul_f16_e32 v73, 0x3b9c, v73
	;; [unrolled: 1-line block ×3, first 2 shown]
	v_fmac_f16_e32 v63, 0x38b4, v57
	v_add_f16_e32 v57, v29, v17
	v_fmac_f16_e32 v15, 0x3a79, v66
	v_add_f16_e32 v64, v4, v60
	v_add_f16_e32 v75, v68, v55
	v_fmac_f16_e32 v27, 0x38b4, v66
	v_fmac_f16_e32 v73, 0x34f2, v65
	;; [unrolled: 1-line block ×3, first 2 shown]
	v_add_f16_e32 v12, v67, v14
	v_sub_f16_e32 v4, v4, v60
	v_sub_f16_e32 v55, v68, v55
	v_add_f16_e32 v60, v0, v48
	v_fma_f16 v57, -0.5, v57, v0
	v_sub_f16_e32 v65, v31, v51
	v_sub_f16_e32 v14, v67, v14
	;; [unrolled: 1-line block ×4, first 2 shown]
	v_add_f16_e32 v68, v48, v52
	v_add_f16_e32 v61, v76, v15
	;; [unrolled: 1-line block ×4, first 2 shown]
	v_sub_f16_e32 v15, v76, v15
	v_sub_f16_e32 v76, v70, v27
	v_add_f16_e32 v27, v60, v29
	v_fmamk_f16 v60, v65, 0xbb9c, v57
	v_sub_f16_e32 v82, v53, v56
	v_sub_f16_e32 v53, v50, v49
	v_add_f16_e32 v56, v66, v67
	v_fmac_f16_e32 v0, -0.5, v68
	v_fmac_f16_e32 v57, 0x3b9c, v65
	v_sub_f16_e32 v66, v29, v48
	v_sub_f16_e32 v67, v17, v52
	v_add_f16_e32 v80, v71, v63
	v_fmac_f16_e32 v60, 0xb8b4, v53
	v_sub_f16_e32 v83, v71, v63
	v_fmamk_f16 v63, v53, 0x3b9c, v0
	v_fmac_f16_e32 v57, 0x38b4, v53
	v_add_f16_e32 v66, v66, v67
	v_add_f16_e32 v67, v2, v31
	v_fmac_f16_e32 v0, 0xbb9c, v53
	v_add_f16_e32 v53, v50, v49
	v_add_f16_e32 v27, v27, v17
	v_fmac_f16_e32 v63, 0xb8b4, v65
	v_add_f16_e32 v67, v67, v50
	v_sub_f16_e32 v48, v48, v52
	v_fma_f16 v53, -0.5, v53, v2
	v_fmac_f16_e32 v0, 0x38b4, v65
	v_add_f16_e32 v65, v31, v51
	v_add_f16_e32 v27, v27, v52
	v_fmac_f16_e32 v60, 0x34f2, v56
	v_fmac_f16_e32 v57, 0x34f2, v56
	v_add_f16_e32 v52, v67, v49
	v_fmamk_f16 v56, v48, 0x3b9c, v53
	v_sub_f16_e32 v17, v29, v17
	v_sub_f16_e32 v29, v31, v50
	;; [unrolled: 1-line block ×3, first 2 shown]
	v_fmac_f16_e32 v2, -0.5, v65
	v_fmac_f16_e32 v53, 0xbb9c, v48
	v_sub_f16_e32 v31, v50, v31
	v_sub_f16_e32 v49, v49, v51
	v_fmac_f16_e32 v56, 0x38b4, v17
	v_add_f16_e32 v29, v29, v67
	v_fmamk_f16 v65, v17, 0xbb9c, v2
	v_fmac_f16_e32 v53, 0xb8b4, v17
	v_add_f16_e32 v31, v31, v49
	v_fmac_f16_e32 v2, 0x3b9c, v17
	v_add_f16_e32 v49, v6, v8
	;; [unrolled: 2-line block ×3, first 2 shown]
	v_fmac_f16_e32 v65, 0x38b4, v48
	v_fmac_f16_e32 v53, 0x34f2, v29
	;; [unrolled: 1-line block ×3, first 2 shown]
	v_add_f16_e32 v29, v5, v11
	v_fma_f16 v48, -0.5, v49, v1
	v_sub_f16_e32 v49, v13, v7
	v_add_f16_e32 v52, v52, v51
	v_add_f16_e32 v17, v50, v6
	v_fmac_f16_e32 v65, 0x34f2, v31
	v_fmac_f16_e32 v2, 0x34f2, v31
	v_sub_f16_e32 v31, v10, v9
	v_fmac_f16_e32 v1, -0.5, v29
	v_sub_f16_e32 v29, v5, v6
	v_sub_f16_e32 v50, v11, v8
	v_fmamk_f16 v51, v49, 0xbb9c, v48
	v_fmac_f16_e32 v48, 0x3b9c, v49
	v_fmac_f16_e32 v63, 0x34f2, v66
	;; [unrolled: 1-line block ×3, first 2 shown]
	v_add_f16_e32 v29, v29, v50
	v_fmac_f16_e32 v51, 0xb8b4, v31
	v_fmac_f16_e32 v48, 0x38b4, v31
	v_add_f16_e32 v17, v17, v8
	v_fmamk_f16 v66, v31, 0x3b9c, v1
	v_sub_f16_e32 v67, v6, v5
	v_sub_f16_e32 v50, v8, v11
	v_fmac_f16_e32 v1, 0xbb9c, v31
	v_fmac_f16_e32 v51, 0x34f2, v29
	v_add_f16_e32 v31, v10, v9
	v_fmac_f16_e32 v48, 0x34f2, v29
	v_add_f16_e32 v29, v13, v7
	v_add_f16_e32 v17, v17, v11
	v_fmac_f16_e32 v66, 0xb8b4, v49
	v_add_f16_e32 v50, v67, v50
	v_fmac_f16_e32 v1, 0x38b4, v49
	v_fma_f16 v31, -0.5, v31, v3
	v_sub_f16_e32 v5, v5, v11
	v_add_f16_e32 v11, v3, v13
	v_sub_f16_e32 v6, v6, v8
	v_fmac_f16_e32 v3, -0.5, v29
	v_fmac_f16_e32 v66, 0x34f2, v50
	v_fmac_f16_e32 v1, 0x34f2, v50
	v_sub_f16_e32 v29, v13, v10
	v_sub_f16_e32 v13, v10, v13
	v_fmamk_f16 v50, v6, 0xbb9c, v3
	v_sub_f16_e32 v67, v9, v7
	v_fmac_f16_e32 v3, 0x3b9c, v6
	v_fmamk_f16 v8, v5, 0x3b9c, v31
	v_sub_f16_e32 v49, v7, v9
	v_fmac_f16_e32 v31, 0xbb9c, v5
	v_add_f16_e32 v13, v13, v67
	v_fmac_f16_e32 v3, 0xb8b4, v5
	v_fmac_f16_e32 v8, 0x38b4, v6
	v_add_f16_e32 v29, v29, v49
	v_fmac_f16_e32 v50, 0x38b4, v5
	v_add_f16_e32 v5, v11, v10
	v_fmac_f16_e32 v31, 0xb8b4, v6
	v_fmac_f16_e32 v3, 0x34f2, v13
	;; [unrolled: 1-line block ×4, first 2 shown]
	v_add_f16_e32 v5, v5, v9
	v_fmac_f16_e32 v31, 0x34f2, v29
	v_mul_f16_e32 v10, 0xbb9c, v3
	v_mul_f16_e32 v6, 0xb8b4, v8
	v_mul_f16_e32 v9, 0xbb9c, v50
	v_add_f16_e32 v5, v5, v7
	v_mul_f16_e32 v7, 0xb8b4, v31
	v_mul_f16_e32 v3, 0xb4f2, v3
	;; [unrolled: 1-line block ×3, first 2 shown]
	v_add_f16_e32 v58, v69, v54
	v_add_f16_e32 v62, v74, v59
	v_fmac_f16_e32 v10, 0xb4f2, v1
	v_add_f16_e32 v11, v27, v17
	v_sub_f16_e32 v17, v27, v17
	v_mul_u32_u24_e32 v27, 10, v16
	v_fmac_f16_e32 v6, 0x3a79, v51
	v_fmac_f16_e32 v9, 0x34f2, v66
	;; [unrolled: 1-line block ×5, first 2 shown]
	v_sub_f16_e32 v54, v69, v54
	v_sub_f16_e32 v59, v74, v59
	v_add_f16_e32 v49, v0, v10
	v_sub_f16_e32 v0, v0, v10
	v_lshl_add_u32 v10, v27, 1, 0
	v_pack_b32_f16 v27, v62, v64
	v_pack_b32_f16 v48, v58, v61
	v_add_f16_e32 v13, v60, v6
	v_add_f16_e32 v29, v63, v9
	;; [unrolled: 1-line block ×4, first 2 shown]
	v_sub_f16_e32 v2, v2, v3
	v_sub_f16_e32 v3, v53, v31
	v_mul_i32_i24_e32 v31, 10, v20
	v_add_f16_e32 v67, v57, v7
	v_sub_f16_e32 v6, v60, v6
	v_sub_f16_e32 v9, v63, v9
	;; [unrolled: 1-line block ×3, first 2 shown]
	ds_write2_b32 v10, v48, v27 offset1:1
	v_pack_b32_f16 v15, v15, v59
	v_pack_b32_f16 v27, v75, v54
	;; [unrolled: 1-line block ×3, first 2 shown]
	v_lshl_add_u32 v48, v31, 1, 0
	v_pack_b32_f16 v29, v29, v49
	v_pack_b32_f16 v11, v11, v13
	;; [unrolled: 1-line block ×5, first 2 shown]
	ds_write2_b32 v10, v27, v15 offset0:2 offset1:3
	ds_write_b32 v10, v4 offset:16
	ds_write2_b32 v48, v11, v29 offset1:1
	ds_write2_b32 v48, v9, v6 offset0:2 offset1:3
	ds_write_b32 v48, v0 offset:16
	v_and_b32_e32 v0, 0xff, v16
	v_add_f16_e32 v78, v72, v73
	v_mul_f16_e32 v8, 0x3a79, v8
	v_mul_f16_e32 v66, 0x3b9c, v66
	v_sub_f16_e32 v81, v72, v73
	v_mul_lo_u16 v0, 0xcd, v0
	v_mad_i32_i24 v49, 0xffffffee, v16, v10
	v_fmac_f16_e32 v8, 0x38b4, v51
	v_fmac_f16_e32 v66, 0x34f2, v50
	v_lshl_add_u32 v50, v23, 1, 0
	v_lshrrev_b16 v29, 11, v0
	v_lshl_add_u32 v53, v21, 1, 0
	v_pack_b32_f16 v4, v78, v79
	v_pack_b32_f16 v0, v12, v77
	v_lshl_add_u32 v51, v25, 1, 0
	v_mul_lo_u16 v9, v29, 10
	v_pack_b32_f16 v6, v76, v81
	v_pack_b32_f16 v7, v80, v14
	v_add_f16_e32 v1, v52, v5
	v_sub_f16_e32 v5, v52, v5
	v_sub_nc_u16 v31, v16, v9
	v_mov_b32_e32 v9, 9
	v_lshl_add_u32 v52, v28, 1, 0
	v_mad_i32_i24 v17, 0xffffffee, v20, v48
	v_add_f16_e32 v84, v56, v8
	v_add_f16_e32 v85, v65, v66
	v_sub_f16_e32 v8, v56, v8
	v_sub_f16_e32 v88, v65, v66
	s_waitcnt lgkmcnt(0)
	s_barrier
	buffer_gl0_inv
	ds_read_u16 v63, v50
	ds_read_u16 v61, v51
	;; [unrolled: 1-line block ×5, first 2 shown]
	ds_read_u16 v59, v49 offset:960
	ds_read_u16 v58, v49 offset:1600
	;; [unrolled: 1-line block ×7, first 2 shown]
	ds_read_u16 v74, v53
	ds_read_u16 v62, v49 offset:6080
	ds_read_u16 v64, v49 offset:5760
	;; [unrolled: 1-line block ×7, first 2 shown]
	s_waitcnt lgkmcnt(0)
	s_barrier
	buffer_gl0_inv
	ds_write2_b32 v10, v0, v4 offset1:1
	ds_write2_b32 v10, v7, v6 offset0:2 offset1:3
	v_mul_u32_u24_sdwa v7, v31, v9 dst_sel:DWORD dst_unused:UNUSED_PAD src0_sel:BYTE_0 src1_sel:DWORD
	v_pack_b32_f16 v0, v82, v83
	v_pack_b32_f16 v2, v2, v3
	;; [unrolled: 1-line block ×4, first 2 shown]
	v_lshlrev_b32_e32 v75, 2, v7
	v_pack_b32_f16 v6, v8, v88
	v_pack_b32_f16 v5, v87, v5
	ds_write_b32 v10, v0 offset:16
	ds_write2_b32 v48, v1, v4 offset1:1
	ds_write2_b32 v48, v5, v6 offset0:2 offset1:3
	ds_write_b32 v48, v2 offset:16
	s_waitcnt lgkmcnt(0)
	s_barrier
	buffer_gl0_inv
	global_load_dwordx4 v[0:3], v75, s[8:9]
	v_mov_b32_e32 v4, 0xcccd
	v_cmp_gt_u32_e64 s0, 0x64, v16
	v_mul_u32_u24_sdwa v4, v20, v4 dst_sel:DWORD dst_unused:UNUSED_PAD src0_sel:WORD_0 src1_sel:DWORD
	v_lshrrev_b32_e32 v54, 19, v4
	global_load_dwordx4 v[4:7], v75, s[8:9] offset:16
	v_mul_lo_u16 v8, v54, 10
	v_sub_nc_u16 v55, v20, v8
	v_mul_u32_u24_sdwa v8, v55, v9 dst_sel:DWORD dst_unused:UNUSED_PAD src0_sel:WORD_0 src1_sel:DWORD
	v_lshlrev_b32_e32 v76, 2, v8
	s_clause 0x3
	global_load_dwordx4 v[8:11], v76, s[8:9]
	global_load_dwordx4 v[12:15], v76, s[8:9] offset:16
	global_load_dword v77, v75, s[8:9] offset:32
	global_load_dword v78, v76, s[8:9] offset:32
	ds_read_u16 v80, v53
	ds_read_u16 v81, v50
	;; [unrolled: 1-line block ×4, first 2 shown]
	ds_read_u16 v84, v49 offset:5120
	ds_read_u16 v85, v49 offset:5440
	;; [unrolled: 1-line block ×6, first 2 shown]
	ds_read_u16 v76, v17
	s_waitcnt vmcnt(5) lgkmcnt(10)
	v_mul_f16_sdwa v75, v80, v0 dst_sel:DWORD dst_unused:UNUSED_PAD src0_sel:DWORD src1_sel:WORD_1
	v_mul_f16_sdwa v87, v74, v0 dst_sel:DWORD dst_unused:UNUSED_PAD src0_sel:DWORD src1_sel:WORD_1
	s_waitcnt lgkmcnt(9)
	v_mul_f16_sdwa v90, v81, v1 dst_sel:DWORD dst_unused:UNUSED_PAD src0_sel:DWORD src1_sel:WORD_1
	v_fmac_f16_e32 v75, v74, v0
	v_mul_f16_sdwa v74, v63, v1 dst_sel:DWORD dst_unused:UNUSED_PAD src0_sel:DWORD src1_sel:WORD_1
	v_fmac_f16_e32 v90, v63, v1
	v_fma_f16 v0, v80, v0, -v87
	s_waitcnt lgkmcnt(8)
	v_mul_f16_sdwa v80, v82, v2 dst_sel:DWORD dst_unused:UNUSED_PAD src0_sel:DWORD src1_sel:WORD_1
	v_mul_f16_sdwa v63, v61, v2 dst_sel:DWORD dst_unused:UNUSED_PAD src0_sel:DWORD src1_sel:WORD_1
	v_fma_f16 v1, v81, v1, -v74
	ds_read_u16 v74, v49 offset:4480
	s_waitcnt lgkmcnt(8)
	v_mul_f16_sdwa v87, v83, v3 dst_sel:DWORD dst_unused:UNUSED_PAD src0_sel:DWORD src1_sel:WORD_1
	v_fmac_f16_e32 v80, v61, v2
	v_fma_f16 v2, v82, v2, -v63
	ds_read_u16 v61, v49 offset:960
	ds_read_u16 v63, v49 offset:1600
	;; [unrolled: 1-line block ×5, first 2 shown]
	s_waitcnt vmcnt(4) lgkmcnt(7)
	v_mul_f16_sdwa v92, v89, v4 dst_sel:DWORD dst_unused:UNUSED_PAD src0_sel:DWORD src1_sel:WORD_1
	v_fmac_f16_e32 v87, v60, v3
	v_mul_f16_sdwa v60, v60, v3 dst_sel:DWORD dst_unused:UNUSED_PAD src0_sel:DWORD src1_sel:WORD_1
	v_mul_f16_sdwa v93, v72, v4 dst_sel:DWORD dst_unused:UNUSED_PAD src0_sel:DWORD src1_sel:WORD_1
	;; [unrolled: 1-line block ×3, first 2 shown]
	v_fmac_f16_e32 v92, v72, v4
	v_fma_f16 v3, v83, v3, -v60
	v_mul_f16_sdwa v60, v70, v5 dst_sel:DWORD dst_unused:UNUSED_PAD src0_sel:DWORD src1_sel:WORD_1
	v_fma_f16 v4, v89, v4, -v93
	v_fmac_f16_e32 v94, v70, v5
	ds_read_u16 v70, v49 offset:4800
	ds_read_u16 v72, v49 offset:4160
	v_mul_f16_sdwa v89, v73, v6 dst_sel:DWORD dst_unused:UNUSED_PAD src0_sel:DWORD src1_sel:WORD_1
	v_mul_f16_sdwa v93, v84, v7 dst_sel:DWORD dst_unused:UNUSED_PAD src0_sel:DWORD src1_sel:WORD_1
	v_fma_f16 v5, v88, v5, -v60
	s_waitcnt lgkmcnt(7)
	v_mul_f16_sdwa v83, v74, v6 dst_sel:DWORD dst_unused:UNUSED_PAD src0_sel:DWORD src1_sel:WORD_1
	v_mul_f16_sdwa v60, v71, v7 dst_sel:DWORD dst_unused:UNUSED_PAD src0_sel:DWORD src1_sel:WORD_1
	v_fmac_f16_e32 v93, v71, v7
	ds_read_u16 v71, v49
	v_fmac_f16_e32 v83, v73, v6
	v_fma_f16 v6, v74, v6, -v89
	s_waitcnt vmcnt(3) lgkmcnt(7)
	v_mul_f16_sdwa v73, v61, v8 dst_sel:DWORD dst_unused:UNUSED_PAD src0_sel:DWORD src1_sel:WORD_1
	s_waitcnt lgkmcnt(6)
	v_mul_f16_sdwa v74, v63, v9 dst_sel:DWORD dst_unused:UNUSED_PAD src0_sel:DWORD src1_sel:WORD_1
	v_fma_f16 v7, v84, v7, -v60
	v_mul_f16_sdwa v60, v59, v8 dst_sel:DWORD dst_unused:UNUSED_PAD src0_sel:DWORD src1_sel:WORD_1
	v_mul_f16_sdwa v84, v58, v9 dst_sel:DWORD dst_unused:UNUSED_PAD src0_sel:DWORD src1_sel:WORD_1
	v_fmac_f16_e32 v73, v59, v8
	s_waitcnt lgkmcnt(5)
	v_mul_f16_sdwa v59, v81, v10 dst_sel:DWORD dst_unused:UNUSED_PAD src0_sel:DWORD src1_sel:WORD_1
	v_fmac_f16_e32 v74, v58, v9
	v_mul_f16_sdwa v58, v57, v10 dst_sel:DWORD dst_unused:UNUSED_PAD src0_sel:DWORD src1_sel:WORD_1
	v_fma_f16 v8, v61, v8, -v60
	v_mul_f16_sdwa v60, v67, v11 dst_sel:DWORD dst_unused:UNUSED_PAD src0_sel:DWORD src1_sel:WORD_1
	v_fmac_f16_e32 v59, v57, v10
	s_waitcnt lgkmcnt(3)
	v_mul_f16_sdwa v57, v91, v11 dst_sel:DWORD dst_unused:UNUSED_PAD src0_sel:DWORD src1_sel:WORD_1
	s_waitcnt vmcnt(2)
	v_mul_f16_sdwa v61, v82, v12 dst_sel:DWORD dst_unused:UNUSED_PAD src0_sel:DWORD src1_sel:WORD_1
	v_fma_f16 v10, v81, v10, -v58
	v_mul_f16_sdwa v58, v66, v12 dst_sel:DWORD dst_unused:UNUSED_PAD src0_sel:DWORD src1_sel:WORD_1
	v_fma_f16 v9, v63, v9, -v84
	v_fmac_f16_e32 v57, v67, v11
	v_fma_f16 v11, v91, v11, -v60
	v_fmac_f16_e32 v61, v66, v12
	s_waitcnt lgkmcnt(1)
	v_mul_f16_sdwa v60, v72, v13 dst_sel:DWORD dst_unused:UNUSED_PAD src0_sel:DWORD src1_sel:WORD_1
	v_fma_f16 v12, v82, v12, -v58
	v_mul_f16_sdwa v58, v69, v13 dst_sel:DWORD dst_unused:UNUSED_PAD src0_sel:DWORD src1_sel:WORD_1
	v_mul_f16_sdwa v63, v70, v14 dst_sel:DWORD dst_unused:UNUSED_PAD src0_sel:DWORD src1_sel:WORD_1
	;; [unrolled: 1-line block ×3, first 2 shown]
	v_fmac_f16_e32 v60, v69, v13
	v_mul_f16_sdwa v67, v85, v15 dst_sel:DWORD dst_unused:UNUSED_PAD src0_sel:DWORD src1_sel:WORD_1
	v_fma_f16 v13, v72, v13, -v58
	v_mul_f16_sdwa v58, v65, v15 dst_sel:DWORD dst_unused:UNUSED_PAD src0_sel:DWORD src1_sel:WORD_1
	v_fmac_f16_e32 v63, v68, v14
	v_fma_f16 v14, v70, v14, -v66
	v_fmac_f16_e32 v67, v65, v15
	s_waitcnt vmcnt(1)
	v_mul_f16_sdwa v65, v86, v77 dst_sel:DWORD dst_unused:UNUSED_PAD src0_sel:DWORD src1_sel:WORD_1
	v_mul_f16_sdwa v66, v64, v77 dst_sel:DWORD dst_unused:UNUSED_PAD src0_sel:DWORD src1_sel:WORD_1
	s_waitcnt vmcnt(0)
	v_mul_f16_sdwa v68, v79, v78 dst_sel:DWORD dst_unused:UNUSED_PAD src0_sel:DWORD src1_sel:WORD_1
	v_fma_f16 v15, v85, v15, -v58
	v_add_f16_e32 v58, v87, v94
	v_fmac_f16_e32 v65, v64, v77
	v_fma_f16 v64, v86, v77, -v66
	v_fmac_f16_e32 v68, v62, v78
	v_mul_f16_sdwa v62, v62, v78 dst_sel:DWORD dst_unused:UNUSED_PAD src0_sel:DWORD src1_sel:WORD_1
	v_fma_f16 v58, -0.5, v58, v56
	v_sub_f16_e32 v66, v1, v7
	v_sub_f16_e32 v69, v90, v87
	;; [unrolled: 1-line block ×3, first 2 shown]
	v_fma_f16 v62, v79, v78, -v62
	v_sub_f16_e32 v78, v3, v5
	v_fmamk_f16 v77, v66, 0xbb9c, v58
	v_fmac_f16_e32 v58, 0x3b9c, v66
	v_add_f16_e32 v72, v90, v93
	v_add_f16_e32 v69, v69, v70
	;; [unrolled: 1-line block ×3, first 2 shown]
	v_fmac_f16_e32 v77, 0xb8b4, v78
	v_fmac_f16_e32 v58, 0x38b4, v78
	v_fmac_f16_e32 v56, -0.5, v72
	v_sub_f16_e32 v72, v87, v90
	v_sub_f16_e32 v79, v94, v93
	v_fmac_f16_e32 v77, 0x34f2, v69
	v_fmac_f16_e32 v58, 0x34f2, v69
	s_waitcnt lgkmcnt(0)
	v_add_f16_e32 v69, v71, v1
	v_fmamk_f16 v81, v78, 0x3b9c, v56
	v_fmac_f16_e32 v56, 0xbb9c, v78
	v_add_f16_e32 v70, v70, v87
	v_add_f16_e32 v78, v3, v5
	;; [unrolled: 1-line block ×5, first 2 shown]
	v_fmac_f16_e32 v81, 0xb8b4, v66
	v_fmac_f16_e32 v56, 0x38b4, v66
	v_add_f16_e32 v66, v70, v94
	v_sub_f16_e32 v70, v90, v93
	v_sub_f16_e32 v84, v87, v94
	v_add_f16_e32 v69, v69, v5
	v_fma_f16 v78, -0.5, v78, v71
	v_fmac_f16_e32 v71, -0.5, v82
	v_fmac_f16_e32 v81, 0x34f2, v72
	v_fmac_f16_e32 v56, 0x34f2, v72
	v_sub_f16_e32 v72, v1, v3
	v_sub_f16_e32 v79, v7, v5
	;; [unrolled: 1-line block ×3, first 2 shown]
	v_add_f16_e32 v3, v69, v7
	v_fmamk_f16 v69, v70, 0x3b9c, v78
	v_fmac_f16_e32 v78, 0xbb9c, v70
	v_sub_f16_e32 v5, v5, v7
	v_fmamk_f16 v7, v84, 0xbb9c, v71
	v_fmac_f16_e32 v71, 0x3b9c, v84
	v_add_f16_e32 v72, v72, v79
	v_fmac_f16_e32 v69, 0x38b4, v84
	v_fmac_f16_e32 v78, 0xb8b4, v84
	v_add_f16_e32 v1, v1, v5
	v_fmac_f16_e32 v7, 0x38b4, v70
	v_add_f16_e32 v5, v92, v83
	v_fmac_f16_e32 v71, 0xb8b4, v70
	v_sub_f16_e32 v70, v80, v92
	v_sub_f16_e32 v79, v65, v83
	v_fmac_f16_e32 v69, 0x34f2, v72
	v_fma_f16 v5, -0.5, v5, v75
	v_sub_f16_e32 v82, v2, v64
	v_fmac_f16_e32 v78, 0x34f2, v72
	v_add_f16_e32 v72, v80, v65
	v_add_f16_e32 v70, v70, v79
	;; [unrolled: 1-line block ×3, first 2 shown]
	v_fmamk_f16 v84, v82, 0xbb9c, v5
	v_sub_f16_e32 v85, v4, v6
	v_fmac_f16_e32 v75, -0.5, v72
	v_fmac_f16_e32 v5, 0x3b9c, v82
	v_add_f16_e32 v79, v79, v92
	v_sub_f16_e32 v72, v92, v80
	v_sub_f16_e32 v86, v83, v65
	v_fmac_f16_e32 v84, 0xb8b4, v85
	v_fmamk_f16 v87, v85, 0x3b9c, v75
	v_fmac_f16_e32 v75, 0xbb9c, v85
	v_fmac_f16_e32 v5, 0x38b4, v85
	;; [unrolled: 1-line block ×4, first 2 shown]
	v_add_f16_e32 v1, v79, v83
	v_add_f16_e32 v72, v72, v86
	v_fmac_f16_e32 v87, 0xb8b4, v82
	v_fmac_f16_e32 v75, 0x38b4, v82
	;; [unrolled: 1-line block ×4, first 2 shown]
	v_add_f16_e32 v1, v1, v65
	v_sub_f16_e32 v65, v80, v65
	v_add_f16_e32 v70, v4, v6
	v_add_f16_e32 v80, v2, v64
	v_fmac_f16_e32 v87, 0x34f2, v72
	v_fmac_f16_e32 v75, 0x34f2, v72
	v_sub_f16_e32 v72, v2, v4
	v_sub_f16_e32 v79, v64, v6
	v_add_f16_e32 v82, v0, v2
	v_fma_f16 v70, -0.5, v70, v0
	v_sub_f16_e32 v83, v92, v83
	v_fmac_f16_e32 v0, -0.5, v80
	v_add_f16_e32 v72, v72, v79
	v_add_f16_e32 v79, v82, v4
	v_fmamk_f16 v80, v65, 0x3b9c, v70
	v_sub_f16_e32 v2, v4, v2
	v_sub_f16_e32 v4, v6, v64
	v_fmamk_f16 v82, v83, 0xbb9c, v0
	v_fmac_f16_e32 v70, 0xbb9c, v65
	v_fmac_f16_e32 v80, 0x38b4, v83
	v_fmac_f16_e32 v0, 0x3b9c, v83
	v_add_f16_e32 v2, v2, v4
	v_fmac_f16_e32 v82, 0x38b4, v65
	v_add_f16_e32 v4, v79, v6
	v_fmac_f16_e32 v80, 0x34f2, v72
	v_fmac_f16_e32 v70, 0xb8b4, v83
	;; [unrolled: 1-line block ×4, first 2 shown]
	v_add_f16_e32 v4, v4, v64
	v_mul_f16_e32 v64, 0x3a79, v80
	v_fmac_f16_e32 v70, 0x34f2, v72
	v_fmac_f16_e32 v0, 0x34f2, v2
	v_mul_f16_e32 v65, 0xbb9c, v82
	v_mul_f16_e32 v2, 0x34f2, v82
	v_mul_f16_e32 v6, 0xb8b4, v80
	v_fmac_f16_e32 v64, 0x38b4, v84
	v_mul_f16_e32 v72, 0xbb9c, v0
	v_fmac_f16_e32 v65, 0x34f2, v87
	v_mul_f16_e32 v0, 0xb4f2, v0
	v_mul_f16_e32 v79, 0xb8b4, v70
	v_fmac_f16_e32 v2, 0x3b9c, v87
	v_add_f16_e32 v66, v66, v93
	v_fmac_f16_e32 v6, 0x3a79, v84
	v_mul_f16_e32 v70, 0xba79, v70
	v_fmac_f16_e32 v72, 0xb4f2, v75
	v_fmac_f16_e32 v0, 0x3b9c, v75
	;; [unrolled: 1-line block ×3, first 2 shown]
	v_add_f16_e32 v75, v81, v65
	v_sub_f16_e32 v65, v81, v65
	v_add_f16_e32 v81, v69, v64
	v_sub_f16_e32 v64, v69, v64
	;; [unrolled: 2-line block ×3, first 2 shown]
	v_add_f16_e32 v2, v57, v60
	v_fmac_f16_e32 v70, 0x38b4, v5
	v_add_f16_e32 v5, v66, v1
	v_sub_f16_e32 v1, v66, v1
	v_add_f16_e32 v66, v77, v6
	v_sub_f16_e32 v6, v77, v6
	v_add_f16_e32 v77, v56, v72
	v_sub_f16_e32 v56, v56, v72
	v_add_f16_e32 v72, v58, v79
	v_sub_f16_e32 v58, v58, v79
	v_add_f16_e32 v79, v3, v4
	v_sub_f16_e32 v80, v3, v4
	v_add_f16_e32 v83, v71, v0
	v_sub_f16_e32 v3, v74, v57
	v_sub_f16_e32 v4, v67, v60
	v_sub_f16_e32 v0, v71, v0
	v_add_f16_e32 v7, v74, v67
	v_fma_f16 v2, -0.5, v2, v27
	v_sub_f16_e32 v71, v9, v15
	v_add_f16_e32 v3, v3, v4
	v_add_f16_e32 v4, v27, v74
	v_fmac_f16_e32 v27, -0.5, v7
	v_sub_f16_e32 v7, v11, v13
	v_fmamk_f16 v84, v71, 0xbb9c, v2
	v_fmac_f16_e32 v2, 0x3b9c, v71
	v_sub_f16_e32 v85, v57, v74
	v_sub_f16_e32 v86, v60, v67
	v_fmamk_f16 v87, v7, 0x3b9c, v27
	v_fmac_f16_e32 v84, 0xb8b4, v7
	v_fmac_f16_e32 v27, 0xbb9c, v7
	;; [unrolled: 1-line block ×3, first 2 shown]
	v_add_f16_e32 v7, v85, v86
	v_fmac_f16_e32 v87, 0xb8b4, v71
	v_fmac_f16_e32 v84, 0x34f2, v3
	v_fmac_f16_e32 v27, 0x38b4, v71
	v_fmac_f16_e32 v2, 0x34f2, v3
	v_add_f16_e32 v3, v76, v9
	v_add_f16_e32 v4, v4, v57
	v_fmac_f16_e32 v87, 0x34f2, v7
	v_fmac_f16_e32 v27, 0x34f2, v7
	v_sub_f16_e32 v7, v74, v67
	v_add_f16_e32 v3, v3, v11
	v_add_f16_e32 v74, v11, v13
	;; [unrolled: 1-line block ×4, first 2 shown]
	v_sub_f16_e32 v57, v57, v60
	v_add_f16_e32 v3, v3, v13
	v_fma_f16 v60, -0.5, v74, v76
	v_fmac_f16_e32 v76, -0.5, v85
	v_add_f16_e32 v71, v78, v70
	v_sub_f16_e32 v70, v78, v70
	v_add_f16_e32 v4, v4, v67
	v_sub_f16_e32 v67, v9, v11
	v_sub_f16_e32 v78, v15, v13
	;; [unrolled: 1-line block ×3, first 2 shown]
	v_add_f16_e32 v3, v3, v15
	v_fmamk_f16 v11, v7, 0x3b9c, v60
	v_fmac_f16_e32 v60, 0xbb9c, v7
	v_sub_f16_e32 v13, v13, v15
	v_fmamk_f16 v15, v57, 0xbb9c, v76
	v_fmac_f16_e32 v76, 0x3b9c, v57
	v_add_f16_e32 v67, v67, v78
	v_fmac_f16_e32 v11, 0x38b4, v57
	v_fmac_f16_e32 v60, 0xb8b4, v57
	v_add_f16_e32 v9, v9, v13
	v_fmac_f16_e32 v15, 0x38b4, v7
	v_add_f16_e32 v13, v61, v63
	v_fmac_f16_e32 v76, 0xb8b4, v7
	v_sub_f16_e32 v7, v59, v61
	v_sub_f16_e32 v57, v68, v63
	v_fmac_f16_e32 v11, 0x34f2, v67
	v_fma_f16 v13, -0.5, v13, v73
	v_sub_f16_e32 v74, v10, v62
	v_fmac_f16_e32 v60, 0x34f2, v67
	v_add_f16_e32 v67, v59, v68
	v_add_f16_e32 v7, v7, v57
	;; [unrolled: 1-line block ×3, first 2 shown]
	v_fmamk_f16 v78, v74, 0xbb9c, v13
	v_sub_f16_e32 v85, v12, v14
	v_fmac_f16_e32 v73, -0.5, v67
	v_fmac_f16_e32 v13, 0x3b9c, v74
	v_add_f16_e32 v57, v57, v61
	v_sub_f16_e32 v67, v61, v59
	v_sub_f16_e32 v86, v63, v68
	v_fmac_f16_e32 v78, 0xb8b4, v85
	v_fmamk_f16 v88, v85, 0x3b9c, v73
	v_fmac_f16_e32 v73, 0xbb9c, v85
	v_fmac_f16_e32 v13, 0x38b4, v85
	;; [unrolled: 1-line block ×4, first 2 shown]
	v_add_f16_e32 v9, v57, v63
	v_add_f16_e32 v67, v67, v86
	v_fmac_f16_e32 v88, 0xb8b4, v74
	v_fmac_f16_e32 v73, 0x38b4, v74
	;; [unrolled: 1-line block ×4, first 2 shown]
	v_add_f16_e32 v7, v9, v68
	v_sub_f16_e32 v9, v59, v68
	v_add_f16_e32 v57, v12, v14
	v_add_f16_e32 v68, v10, v62
	v_fmac_f16_e32 v88, 0x34f2, v67
	v_fmac_f16_e32 v73, 0x34f2, v67
	v_sub_f16_e32 v59, v10, v12
	v_sub_f16_e32 v67, v62, v14
	v_add_f16_e32 v74, v8, v10
	v_fma_f16 v57, -0.5, v57, v8
	v_sub_f16_e32 v61, v61, v63
	v_fmac_f16_e32 v8, -0.5, v68
	v_add_f16_e32 v59, v59, v67
	v_add_f16_e32 v63, v74, v12
	v_fmamk_f16 v67, v9, 0x3b9c, v57
	v_sub_f16_e32 v10, v12, v10
	v_sub_f16_e32 v12, v14, v62
	v_fmamk_f16 v68, v61, 0xbb9c, v8
	v_fmac_f16_e32 v57, 0xbb9c, v9
	v_fmac_f16_e32 v8, 0x3b9c, v61
	;; [unrolled: 1-line block ×3, first 2 shown]
	v_add_f16_e32 v10, v10, v12
	v_add_f16_e32 v12, v63, v14
	v_fmac_f16_e32 v57, 0xb8b4, v61
	v_fmac_f16_e32 v8, 0xb8b4, v9
	;; [unrolled: 1-line block ×4, first 2 shown]
	v_add_f16_e32 v9, v12, v62
	v_fmac_f16_e32 v57, 0x34f2, v59
	v_fmac_f16_e32 v8, 0x34f2, v10
	v_mul_f16_e32 v14, 0x3a79, v67
	v_fmac_f16_e32 v68, 0x34f2, v10
	v_sub_f16_e32 v74, v3, v9
	v_mul_f16_e32 v62, 0xb8b4, v57
	v_mul_f16_e32 v61, 0xbb9c, v8
	v_mul_f16_e32 v8, 0xb4f2, v8
	v_mul_f16_e32 v57, 0xba79, v57
	v_fmac_f16_e32 v14, 0x38b4, v78
	v_fmac_f16_e32 v62, 0xba79, v13
	;; [unrolled: 1-line block ×5, first 2 shown]
	v_add_f16_e32 v13, v4, v7
	v_sub_f16_e32 v7, v4, v7
	v_mov_b32_e32 v73, 0xc8
	v_mov_b32_e32 v4, 1
	v_mul_f16_e32 v59, 0xbb9c, v68
	v_mul_f16_e32 v10, 0x34f2, v68
	v_add_f16_e32 v68, v27, v61
	v_sub_f16_e32 v27, v27, v61
	v_add_f16_e32 v61, v2, v62
	v_sub_f16_e32 v2, v2, v62
	v_add_f16_e32 v62, v3, v9
	v_mul_u32_u24_sdwa v3, v29, v73 dst_sel:DWORD dst_unused:UNUSED_PAD src0_sel:WORD_0 src1_sel:DWORD
	v_add_f16_e32 v9, v11, v14
	v_sub_f16_e32 v11, v11, v14
	v_lshlrev_b32_sdwa v14, v4, v31 dst_sel:DWORD dst_unused:UNUSED_PAD src0_sel:DWORD src1_sel:BYTE_0
	v_mul_f16_e32 v12, 0xb8b4, v67
	v_fmac_f16_e32 v59, 0x34f2, v88
	s_barrier
	v_add3_u32 v14, 0, v3, v14
	v_fmac_f16_e32 v12, 0x3a79, v78
	buffer_gl0_inv
	ds_write_b16 v14, v5
	ds_write_b16 v14, v66 offset:20
	v_mul_u32_u24_e32 v3, 0xc8, v54
	v_lshlrev_b32_sdwa v5, v4, v55 dst_sel:DWORD dst_unused:UNUSED_PAD src0_sel:DWORD src1_sel:WORD_0
	v_fmac_f16_e32 v10, 0x3b9c, v88
	ds_write_b16 v14, v75 offset:40
	ds_write_b16 v14, v77 offset:60
	;; [unrolled: 1-line block ×4, first 2 shown]
	v_add_nc_u32_e32 v1, 0xffffff9c, v16
	v_add_f16_e32 v63, v84, v12
	v_add_f16_e32 v67, v87, v59
	v_sub_f16_e32 v59, v87, v59
	v_add3_u32 v54, 0, v3, v5
	v_sub_f16_e32 v12, v84, v12
	v_add_f16_e32 v29, v15, v10
	v_sub_f16_e32 v15, v15, v10
	v_add_f16_e32 v10, v76, v8
	;; [unrolled: 2-line block ×3, first 2 shown]
	v_sub_f16_e32 v57, v60, v57
	ds_write_b16 v14, v6 offset:120
	ds_write_b16 v14, v65 offset:140
	;; [unrolled: 1-line block ×4, first 2 shown]
	ds_write_b16 v54, v13
	ds_write_b16 v54, v63 offset:20
	ds_write_b16 v54, v67 offset:40
	;; [unrolled: 1-line block ×9, first 2 shown]
	s_waitcnt lgkmcnt(0)
	s_barrier
	buffer_gl0_inv
	v_lshl_add_u32 v2, v22, 1, 0
	v_lshl_add_u32 v3, v24, 1, 0
	ds_read_u16 v27, v49 offset:3840
	ds_read_u16 v58, v49
	ds_read_u16 v59, v49 offset:1920
	ds_read_u16 v60, v49 offset:2240
	;; [unrolled: 1-line block ×6, first 2 shown]
	ds_read_u16 v8, v17
	ds_read_u16 v6, v2
	;; [unrolled: 1-line block ×4, first 2 shown]
	ds_read_u16 v67, v49 offset:3520
	ds_read_u16 v56, v49 offset:3200
	;; [unrolled: 1-line block ×3, first 2 shown]
	ds_read_u16 v7, v53
	ds_read_u16 v72, v49 offset:6080
	ds_read_u16 v75, v49 offset:5120
	;; [unrolled: 1-line block ×4, first 2 shown]
	s_waitcnt lgkmcnt(0)
	s_barrier
	buffer_gl0_inv
	ds_write_b16 v14, v79
	ds_write_b16 v14, v81 offset:20
	ds_write_b16 v14, v69 offset:40
	;; [unrolled: 1-line block ×6, first 2 shown]
	v_cndmask_b32_e64 v64, v1, v16, s0
	ds_write_b16 v14, v82 offset:140
	ds_write_b16 v14, v0 offset:160
	;; [unrolled: 1-line block ×3, first 2 shown]
	ds_write_b16 v54, v62
	v_mov_b32_e32 v1, 0
	ds_write_b16 v54, v9 offset:20
	ds_write_b16 v54, v29 offset:40
	;; [unrolled: 1-line block ×8, first 2 shown]
	v_mul_i32_i24_e32 v0, 3, v64
	v_mov_b32_e32 v15, 0x147b
	ds_write_b16 v54, v57 offset:180
	s_waitcnt lgkmcnt(0)
	s_barrier
	v_lshlrev_b64 v[9:10], 2, v[0:1]
	v_lshrrev_b16 v0, 2, v20
	buffer_gl0_inv
	v_mov_b32_e32 v31, 3
	ds_read_u16 v54, v3
	v_lshrrev_b16 v57, 2, v21
	v_mul_u32_u24_sdwa v0, v0, v15 dst_sel:DWORD dst_unused:UNUSED_PAD src0_sel:WORD_0 src1_sel:DWORD
	v_add_co_u32 v9, s0, s8, v9
	v_add_co_ci_u32_e64 v10, s0, s9, v10, s0
	v_lshrrev_b32_e32 v0, 17, v0
	v_mul_u32_u24_sdwa v57, v57, v15 dst_sel:DWORD dst_unused:UNUSED_PAD src0_sel:WORD_0 src1_sel:DWORD
	ds_read_u16 v62, v49 offset:3200
	ds_read_u16 v69, v49 offset:4800
	global_load_dwordx3 v[9:11], v[9:10], off offset:360
	v_mul_lo_u16 v12, 0x64, v0
	v_lshrrev_b32_e32 v57, 17, v57
	v_lshrrev_b16 v82, 2, v22
	v_lshrrev_b16 v88, 2, v23
	v_cmp_lt_u32_e64 s0, 0x63, v16
	v_sub_nc_u16 v29, v20, v12
	v_mul_lo_u16 v70, 0x64, v57
	v_mul_u32_u24_sdwa v82, v82, v15 dst_sel:DWORD dst_unused:UNUSED_PAD src0_sel:WORD_0 src1_sel:DWORD
	v_mul_u32_u24_sdwa v15, v88, v15 dst_sel:DWORD dst_unused:UNUSED_PAD src0_sel:WORD_0 src1_sel:DWORD
	v_lshlrev_b32_e32 v64, 1, v64
	v_mul_u32_u24_sdwa v12, v29, v31 dst_sel:DWORD dst_unused:UNUSED_PAD src0_sel:WORD_0 src1_sel:DWORD
	v_sub_nc_u16 v70, v21, v70
	v_lshrrev_b32_e32 v82, 17, v82
	v_lshrrev_b32_e32 v15, 17, v15
	v_mul_u32_u24_e32 v0, 0x320, v0
	v_lshlrev_b32_e32 v12, 2, v12
	v_lshlrev_b32_sdwa v29, v4, v29 dst_sel:DWORD dst_unused:UNUSED_PAD src0_sel:DWORD src1_sel:WORD_0
	v_mul_lo_u16 v96, 0x64, v82
	v_mul_u32_u24_e32 v57, 0x320, v57
	global_load_dwordx3 v[12:14], v12, s[8:9] offset:360
	ds_read_u16 v71, v2
	ds_read_u16 v73, v17
	;; [unrolled: 1-line block ×3, first 2 shown]
	ds_read_u16 v80, v49 offset:3520
	ds_read_u16 v81, v49 offset:3840
	;; [unrolled: 1-line block ×10, first 2 shown]
	ds_read_u16 v93, v53
	ds_read_u16 v94, v49 offset:4480
	v_add3_u32 v0, 0, v0, v29
	ds_read_u16 v98, v49 offset:4160
	s_waitcnt vmcnt(1) lgkmcnt(18)
	v_mul_f16_sdwa v78, v54, v9 dst_sel:DWORD dst_unused:UNUSED_PAD src0_sel:DWORD src1_sel:WORD_1
	v_mul_f16_sdwa v79, v55, v9 dst_sel:DWORD dst_unused:UNUSED_PAD src0_sel:DWORD src1_sel:WORD_1
	s_waitcnt lgkmcnt(17)
	v_mul_f16_sdwa v87, v62, v10 dst_sel:DWORD dst_unused:UNUSED_PAD src0_sel:DWORD src1_sel:WORD_1
	s_waitcnt lgkmcnt(16)
	v_mul_f16_sdwa v95, v69, v11 dst_sel:DWORD dst_unused:UNUSED_PAD src0_sel:DWORD src1_sel:WORD_1
	v_mul_f16_sdwa v88, v76, v11 dst_sel:DWORD dst_unused:UNUSED_PAD src0_sel:DWORD src1_sel:WORD_1
	v_fmac_f16_e32 v78, v55, v9
	v_mul_u32_u24_sdwa v55, v70, v31 dst_sel:DWORD dst_unused:UNUSED_PAD src0_sel:WORD_0 src1_sel:DWORD
	v_fma_f16 v79, v54, v9, -v79
	v_mul_f16_sdwa v9, v56, v10 dst_sel:DWORD dst_unused:UNUSED_PAD src0_sel:DWORD src1_sel:WORD_1
	v_fmac_f16_e32 v87, v56, v10
	v_fmac_f16_e32 v95, v76, v11
	v_lshlrev_b32_e32 v54, 2, v55
	v_sub_nc_u16 v76, v22, v96
	v_fma_f16 v62, v62, v10, -v9
	v_mul_lo_u16 v10, 0x64, v15
	v_fma_f16 v69, v69, v11, -v88
	global_load_dwordx3 v[54:56], v54, s[8:9] offset:360
	v_mul_u32_u24_sdwa v9, v76, v31 dst_sel:DWORD dst_unused:UNUSED_PAD src0_sel:WORD_0 src1_sel:DWORD
	ds_read_u16 v88, v49
	v_lshlrev_b32_sdwa v70, v4, v70 dst_sel:DWORD dst_unused:UNUSED_PAD src0_sel:DWORD src1_sel:WORD_0
	v_sub_f16_e32 v69, v79, v69
	s_waitcnt vmcnt(1) lgkmcnt(11)
	v_mul_f16_sdwa v96, v83, v12 dst_sel:DWORD dst_unused:UNUSED_PAD src0_sel:DWORD src1_sel:WORD_1
	v_mul_f16_sdwa v11, v59, v12 dst_sel:DWORD dst_unused:UNUSED_PAD src0_sel:DWORD src1_sel:WORD_1
	v_lshlrev_b32_e32 v9, 2, v9
	v_mul_f16_sdwa v97, v80, v13 dst_sel:DWORD dst_unused:UNUSED_PAD src0_sel:DWORD src1_sel:WORD_1
	v_add3_u32 v57, 0, v57, v70
	v_fmac_f16_e32 v96, v59, v12
	v_sub_nc_u16 v59, v23, v10
	v_fma_f16 v83, v83, v12, -v11
	v_mul_f16_sdwa v12, v67, v13 dst_sel:DWORD dst_unused:UNUSED_PAD src0_sel:DWORD src1_sel:WORD_1
	global_load_dwordx3 v[9:11], v9, s[8:9] offset:360
	v_fmac_f16_e32 v97, v67, v13
	v_mul_u32_u24_sdwa v31, v59, v31 dst_sel:DWORD dst_unused:UNUSED_PAD src0_sel:WORD_0 src1_sel:DWORD
	s_waitcnt lgkmcnt(7)
	v_mul_f16_sdwa v67, v89, v14 dst_sel:DWORD dst_unused:UNUSED_PAD src0_sel:DWORD src1_sel:WORD_1
	v_fma_f16 v80, v80, v13, -v12
	v_mul_f16_sdwa v12, v75, v14 dst_sel:DWORD dst_unused:UNUSED_PAD src0_sel:DWORD src1_sel:WORD_1
	v_mul_u32_u24_e32 v15, 0x320, v15
	v_lshlrev_b32_e32 v13, 2, v31
	v_fmac_f16_e32 v67, v75, v14
	v_sub_f16_e32 v80, v73, v80
	v_fma_f16 v31, v89, v14, -v12
	global_load_dwordx3 v[12:14], v13, s[8:9] offset:360
	v_sub_f16_e32 v67, v96, v67
	s_waitcnt vmcnt(0) lgkmcnt(0)
	s_barrier
	buffer_gl0_inv
	v_sub_f16_e32 v31, v83, v31
	v_mul_f16_sdwa v75, v84, v54 dst_sel:DWORD dst_unused:UNUSED_PAD src0_sel:DWORD src1_sel:WORD_1
	v_mul_f16_sdwa v89, v60, v54 dst_sel:DWORD dst_unused:UNUSED_PAD src0_sel:DWORD src1_sel:WORD_1
	v_fmac_f16_e32 v75, v60, v54
	v_fma_f16 v54, v84, v54, -v89
	v_mul_f16_sdwa v60, v81, v55 dst_sel:DWORD dst_unused:UNUSED_PAD src0_sel:DWORD src1_sel:WORD_1
	v_mul_f16_sdwa v84, v27, v55 dst_sel:DWORD dst_unused:UNUSED_PAD src0_sel:DWORD src1_sel:WORD_1
	v_fmac_f16_e32 v60, v27, v55
	v_fma_f16 v27, v81, v55, -v84
	v_mul_f16_sdwa v55, v90, v56 dst_sel:DWORD dst_unused:UNUSED_PAD src0_sel:DWORD src1_sel:WORD_1
	v_mul_f16_sdwa v81, v65, v56 dst_sel:DWORD dst_unused:UNUSED_PAD src0_sel:DWORD src1_sel:WORD_1
	;; [unrolled: 1-line block ×3, first 2 shown]
	v_sub_f16_e32 v60, v7, v60
	v_sub_f16_e32 v27, v93, v27
	v_fmac_f16_e32 v55, v65, v56
	v_mul_f16_sdwa v65, v85, v9 dst_sel:DWORD dst_unused:UNUSED_PAD src0_sel:DWORD src1_sel:WORD_1
	v_fma_f16 v56, v90, v56, -v81
	v_mul_f16_sdwa v81, v61, v9 dst_sel:DWORD dst_unused:UNUSED_PAD src0_sel:DWORD src1_sel:WORD_1
	v_fmac_f16_e32 v84, v63, v10
	v_sub_f16_e32 v55, v75, v55
	v_fmac_f16_e32 v65, v61, v9
	v_mul_f16_sdwa v61, v63, v10 dst_sel:DWORD dst_unused:UNUSED_PAD src0_sel:DWORD src1_sel:WORD_1
	v_fma_f16 v9, v85, v9, -v81
	v_mul_f16_sdwa v81, v91, v11 dst_sel:DWORD dst_unused:UNUSED_PAD src0_sel:DWORD src1_sel:WORD_1
	v_mul_f16_sdwa v63, v66, v11 dst_sel:DWORD dst_unused:UNUSED_PAD src0_sel:DWORD src1_sel:WORD_1
	v_mul_f16_sdwa v85, v86, v12 dst_sel:DWORD dst_unused:UNUSED_PAD src0_sel:DWORD src1_sel:WORD_1
	v_fma_f16 v10, v98, v10, -v61
	v_mul_f16_sdwa v61, v68, v12 dst_sel:DWORD dst_unused:UNUSED_PAD src0_sel:DWORD src1_sel:WORD_1
	v_fmac_f16_e32 v81, v66, v11
	v_fma_f16 v11, v91, v11, -v63
	v_fmac_f16_e32 v85, v68, v12
	v_mul_f16_sdwa v63, v94, v13 dst_sel:DWORD dst_unused:UNUSED_PAD src0_sel:DWORD src1_sel:WORD_1
	v_fma_f16 v12, v86, v12, -v61
	v_sub_f16_e32 v61, v58, v87
	v_sub_f16_e32 v68, v78, v95
	v_mul_f16_sdwa v66, v77, v13 dst_sel:DWORD dst_unused:UNUSED_PAD src0_sel:DWORD src1_sel:WORD_1
	v_fmac_f16_e32 v63, v77, v13
	v_cndmask_b32_e64 v86, 0, 0x320, s0
	v_fma_f16 v58, v58, 2.0, -v61
	v_fma_f16 v77, v78, 2.0, -v68
	v_fma_f16 v13, v94, v13, -v66
	v_mul_f16_sdwa v66, v92, v14 dst_sel:DWORD dst_unused:UNUSED_PAD src0_sel:DWORD src1_sel:WORD_1
	v_mul_f16_sdwa v78, v72, v14 dst_sel:DWORD dst_unused:UNUSED_PAD src0_sel:DWORD src1_sel:WORD_1
	v_add3_u32 v64, 0, v86, v64
	v_sub_f16_e32 v77, v58, v77
	v_fma_f16 v7, v7, 2.0, -v60
	v_fmac_f16_e32 v66, v72, v14
	v_fma_f16 v14, v92, v14, -v78
	v_add_f16_e32 v72, v61, v69
	v_fma_f16 v58, v58, 2.0, -v77
	v_sub_f16_e32 v78, v8, v97
	v_fma_f16 v29, v75, 2.0, -v55
	v_sub_f16_e32 v56, v54, v56
	v_fma_f16 v61, v61, 2.0, -v72
	ds_write_b16 v64, v58
	v_fma_f16 v58, v79, 2.0, -v69
	v_fma_f16 v8, v8, 2.0, -v78
	;; [unrolled: 1-line block ×3, first 2 shown]
	ds_write_b16 v64, v61 offset:200
	ds_write_b16 v64, v77 offset:400
	v_sub_f16_e32 v29, v7, v29
	ds_write_b16 v64, v72 offset:600
	v_sub_f16_e32 v11, v9, v11
	v_sub_f16_e32 v61, v8, v69
	v_add_f16_e32 v69, v78, v31
	v_fma_f16 v7, v7, 2.0, -v29
	v_sub_f16_e32 v14, v12, v14
	v_fma_f16 v31, v83, 2.0, -v31
	v_fma_f16 v8, v8, 2.0, -v61
	v_fma_f16 v72, v78, 2.0, -v69
	v_fma_f16 v9, v9, 2.0, -v11
	v_fma_f16 v54, v54, 2.0, -v56
	v_fma_f16 v12, v12, 2.0, -v14
	ds_write_b16 v0, v8
	v_add_f16_e32 v8, v60, v56
	ds_write_b16 v0, v72 offset:200
	ds_write_b16 v0, v61 offset:400
	;; [unrolled: 1-line block ×3, first 2 shown]
	ds_write_b16 v57, v7
	v_sub_f16_e32 v61, v88, v62
	v_lshlrev_b32_sdwa v7, v4, v76 dst_sel:DWORD dst_unused:UNUSED_PAD src0_sel:DWORD src1_sel:WORD_0
	v_fma_f16 v60, v60, 2.0, -v8
	v_mul_u32_u24_e32 v62, 0x320, v82
	v_sub_f16_e32 v69, v6, v84
	v_lshlrev_b32_sdwa v4, v4, v59 dst_sel:DWORD dst_unused:UNUSED_PAD src0_sel:DWORD src1_sel:WORD_0
	v_fma_f16 v59, v88, 2.0, -v61
	ds_write_b16 v57, v60 offset:200
	v_sub_f16_e32 v60, v65, v81
	v_add3_u32 v62, 0, v62, v7
	v_sub_f16_e32 v7, v5, v63
	v_sub_f16_e32 v63, v85, v66
	v_fma_f16 v6, v6, 2.0, -v69
	v_fma_f16 v65, v65, 2.0, -v60
	v_sub_f16_e32 v58, v59, v58
	v_fma_f16 v5, v5, 2.0, -v7
	v_fma_f16 v66, v85, 2.0, -v63
	ds_write_b16 v57, v29 offset:400
	v_sub_f16_e32 v65, v6, v65
	v_add_f16_e32 v29, v69, v11
	ds_write_b16 v57, v8 offset:600
	v_sub_f16_e32 v66, v5, v66
	v_add_f16_e32 v8, v7, v14
	v_fma_f16 v59, v59, 2.0, -v58
	v_fma_f16 v6, v6, 2.0, -v65
	;; [unrolled: 1-line block ×5, first 2 shown]
	v_add3_u32 v15, 0, v15, v4
	ds_write_b16 v62, v6
	ds_write_b16 v62, v69 offset:200
	ds_write_b16 v62, v65 offset:400
	;; [unrolled: 1-line block ×3, first 2 shown]
	ds_write_b16 v15, v5
	ds_write_b16 v15, v7 offset:200
	ds_write_b16 v15, v66 offset:400
	;; [unrolled: 1-line block ×3, first 2 shown]
	s_waitcnt lgkmcnt(0)
	s_barrier
	buffer_gl0_inv
	ds_read_u16 v29, v49 offset:3840
	ds_read_u16 v65, v49
	ds_read_u16 v66, v49 offset:1920
	ds_read_u16 v69, v49 offset:2240
	;; [unrolled: 1-line block ×6, first 2 shown]
	ds_read_u16 v7, v17
	ds_read_u16 v5, v2
	;; [unrolled: 1-line block ×4, first 2 shown]
	ds_read_u16 v78, v49 offset:3520
	ds_read_u16 v79, v49 offset:3200
	;; [unrolled: 1-line block ×3, first 2 shown]
	ds_read_u16 v6, v53
	ds_read_u16 v8, v49 offset:6080
	v_sub_f16_e32 v68, v61, v68
	ds_read_u16 v82, v49 offset:5120
	ds_read_u16 v84, v49 offset:4800
	;; [unrolled: 1-line block ×3, first 2 shown]
	s_waitcnt lgkmcnt(0)
	s_barrier
	buffer_gl0_inv
	ds_write_b16 v64, v59
	v_fma_f16 v59, v73, 2.0, -v80
	v_fma_f16 v61, v61, 2.0, -v68
	v_sub_f16_e32 v11, v80, v67
	ds_write_b16 v64, v61 offset:200
	ds_write_b16 v64, v58 offset:400
	;; [unrolled: 1-line block ×3, first 2 shown]
	v_sub_f16_e32 v31, v59, v31
	v_fma_f16 v56, v93, 2.0, -v27
	v_sub_f16_e32 v10, v71, v10
	v_fma_f16 v58, v80, 2.0, -v11
	;; [unrolled: 2-line block ×3, first 2 shown]
	v_sub_f16_e32 v55, v27, v55
	v_sub_f16_e32 v59, v10, v60
	ds_write_b16 v0, v58 offset:200
	v_fma_f16 v58, v74, 2.0, -v13
	ds_write_b16 v0, v14
	v_sub_f16_e32 v14, v56, v54
	v_fma_f16 v54, v71, 2.0, -v10
	v_sub_f16_e32 v60, v13, v63
	v_sub_f16_e32 v12, v58, v12
	v_fma_f16 v27, v27, 2.0, -v55
	v_fma_f16 v56, v56, 2.0, -v14
	v_sub_f16_e32 v9, v54, v9
	v_fma_f16 v10, v10, 2.0, -v59
	v_fma_f16 v58, v58, 2.0, -v12
	;; [unrolled: 1-line block ×3, first 2 shown]
	v_cmp_gt_u32_e64 s0, 0x50, v16
	v_fma_f16 v54, v54, 2.0, -v9
	ds_write_b16 v0, v31 offset:400
	ds_write_b16 v0, v11 offset:600
	ds_write_b16 v57, v56
	ds_write_b16 v57, v27 offset:200
	ds_write_b16 v57, v14 offset:400
	;; [unrolled: 1-line block ×3, first 2 shown]
	ds_write_b16 v62, v54
	ds_write_b16 v62, v10 offset:200
	ds_write_b16 v62, v9 offset:400
	v_mul_u32_u24_e32 v0, 3, v16
	ds_write_b16 v62, v59 offset:600
	ds_write_b16 v15, v58
	ds_write_b16 v15, v13 offset:200
	ds_write_b16 v15, v12 offset:400
	v_add_nc_u32_e32 v12, 0xffffffb0, v16
	ds_write_b16 v15, v60 offset:600
	s_waitcnt lgkmcnt(0)
	v_lshlrev_b32_e32 v27, 2, v0
	v_mul_i32_i24_e32 v0, 3, v20
	v_cndmask_b32_e64 v15, v12, v21, s0
	s_barrier
	buffer_gl0_inv
	global_load_dwordx3 v[9:11], v27, s[8:9] offset:1560
	v_lshlrev_b64 v[12:13], 2, v[0:1]
	v_mul_i32_i24_e32 v0, 3, v15
	v_lshlrev_b32_e32 v15, 1, v15
	v_lshlrev_b64 v[54:55], 2, v[0:1]
	v_add_co_u32 v12, s0, s8, v12
	v_add_co_ci_u32_e64 v13, s0, s9, v13, s0
	v_add_co_u32 v54, s0, s8, v54
	global_load_dwordx3 v[12:14], v[12:13], off offset:1560
	v_add_co_ci_u32_e64 v55, s0, s9, v55, s0
	v_add_co_u32 v0, s0, s8, v27
	v_add_co_ci_u32_e64 v27, null, s9, 0, s0
	global_load_dwordx3 v[54:56], v[54:55], off offset:1560
	v_add_co_u32 v57, s0, 0x800, v0
	v_add_co_ci_u32_e64 v58, s0, 0, v27, s0
	v_add_co_u32 v60, s0, 0x1000, v0
	v_add_co_ci_u32_e64 v61, s0, 0, v27, s0
	global_load_dwordx3 v[57:59], v[57:58], off offset:472
	v_cmp_lt_u32_e64 s0, 0x4f, v16
	global_load_dwordx3 v[60:62], v[60:61], off offset:344
	ds_read_u16 v0, v3
	ds_read_u16 v27, v49 offset:3200
	ds_read_u16 v31, v49 offset:4800
	ds_read_u16 v63, v2
	ds_read_u16 v64, v17
	ds_read_u16 v67, v50
	ds_read_u16 v73, v49 offset:3520
	ds_read_u16 v74, v49 offset:3840
	ds_read_u16 v80, v49 offset:1920
	ds_read_u16 v83, v49 offset:2240
	ds_read_u16 v86, v49 offset:2560
	ds_read_u16 v87, v49 offset:2880
	s_waitcnt vmcnt(4)
	v_mul_f16_sdwa v71, v77, v9 dst_sel:DWORD dst_unused:UNUSED_PAD src0_sel:DWORD src1_sel:WORD_1
	s_waitcnt lgkmcnt(11)
	v_mul_f16_sdwa v68, v0, v9 dst_sel:DWORD dst_unused:UNUSED_PAD src0_sel:DWORD src1_sel:WORD_1
	s_waitcnt lgkmcnt(10)
	;; [unrolled: 2-line block ×3, first 2 shown]
	v_mul_f16_sdwa v93, v31, v11 dst_sel:DWORD dst_unused:UNUSED_PAD src0_sel:DWORD src1_sel:WORD_1
	v_fma_f16 v0, v0, v9, -v71
	ds_read_u16 v71, v49 offset:5120
	v_fmac_f16_e32 v68, v77, v9
	v_mul_f16_sdwa v9, v79, v10 dst_sel:DWORD dst_unused:UNUSED_PAD src0_sel:DWORD src1_sel:WORD_1
	v_fmac_f16_e32 v88, v79, v10
	ds_read_u16 v77, v49 offset:4160
	ds_read_u16 v79, v49 offset:5440
	;; [unrolled: 1-line block ×4, first 2 shown]
	ds_read_u16 v91, v53
	ds_read_u16 v92, v49 offset:4480
	v_fmac_f16_e32 v93, v84, v11
	v_fma_f16 v9, v27, v10, -v9
	v_mul_f16_sdwa v10, v84, v11 dst_sel:DWORD dst_unused:UNUSED_PAD src0_sel:DWORD src1_sel:WORD_1
	s_waitcnt vmcnt(3) lgkmcnt(10)
	v_mul_f16_sdwa v94, v80, v12 dst_sel:DWORD dst_unused:UNUSED_PAD src0_sel:DWORD src1_sel:WORD_1
	v_mul_f16_sdwa v95, v66, v12 dst_sel:DWORD dst_unused:UNUSED_PAD src0_sel:DWORD src1_sel:WORD_1
	ds_read_u16 v27, v49
	s_waitcnt vmcnt(0) lgkmcnt(0)
	v_fma_f16 v10, v31, v11, -v10
	v_mul_f16_sdwa v11, v73, v13 dst_sel:DWORD dst_unused:UNUSED_PAD src0_sel:DWORD src1_sel:WORD_1
	v_mul_f16_sdwa v31, v78, v13 dst_sel:DWORD dst_unused:UNUSED_PAD src0_sel:DWORD src1_sel:WORD_1
	v_fmac_f16_e32 v94, v66, v12
	v_fma_f16 v12, v80, v12, -v95
	v_mul_f16_sdwa v80, v83, v54 dst_sel:DWORD dst_unused:UNUSED_PAD src0_sel:DWORD src1_sel:WORD_1
	v_fmac_f16_e32 v11, v78, v13
	v_mul_f16_sdwa v66, v71, v14 dst_sel:DWORD dst_unused:UNUSED_PAD src0_sel:DWORD src1_sel:WORD_1
	v_mul_f16_sdwa v78, v82, v14 dst_sel:DWORD dst_unused:UNUSED_PAD src0_sel:DWORD src1_sel:WORD_1
	v_fma_f16 v31, v73, v13, -v31
	v_mul_f16_sdwa v13, v69, v54 dst_sel:DWORD dst_unused:UNUSED_PAD src0_sel:DWORD src1_sel:WORD_1
	v_fmac_f16_e32 v80, v69, v54
	v_fmac_f16_e32 v66, v82, v14
	v_fma_f16 v14, v71, v14, -v78
	v_mul_f16_sdwa v69, v74, v55 dst_sel:DWORD dst_unused:UNUSED_PAD src0_sel:DWORD src1_sel:WORD_1
	v_mul_f16_sdwa v71, v29, v55 dst_sel:DWORD dst_unused:UNUSED_PAD src0_sel:DWORD src1_sel:WORD_1
	v_fma_f16 v13, v83, v54, -v13
	v_mul_f16_sdwa v54, v79, v56 dst_sel:DWORD dst_unused:UNUSED_PAD src0_sel:DWORD src1_sel:WORD_1
	v_mul_f16_sdwa v73, v75, v56 dst_sel:DWORD dst_unused:UNUSED_PAD src0_sel:DWORD src1_sel:WORD_1
	;; [unrolled: 1-line block ×3, first 2 shown]
	v_fmac_f16_e32 v69, v29, v55
	v_fma_f16 v29, v74, v55, -v71
	v_fmac_f16_e32 v54, v75, v56
	v_fma_f16 v55, v79, v56, -v73
	v_fmac_f16_e32 v78, v70, v57
	v_mul_f16_sdwa v56, v70, v57 dst_sel:DWORD dst_unused:UNUSED_PAD src0_sel:DWORD src1_sel:WORD_1
	v_mul_f16_sdwa v70, v77, v58 dst_sel:DWORD dst_unused:UNUSED_PAD src0_sel:DWORD src1_sel:WORD_1
	;; [unrolled: 1-line block ×5, first 2 shown]
	v_fma_f16 v56, v86, v57, -v56
	v_fmac_f16_e32 v70, v72, v58
	v_fma_f16 v71, v77, v58, -v71
	v_fmac_f16_e32 v73, v76, v59
	v_fma_f16 v57, v89, v59, -v74
	v_mul_f16_sdwa v58, v87, v60 dst_sel:DWORD dst_unused:UNUSED_PAD src0_sel:DWORD src1_sel:WORD_1
	v_mul_f16_sdwa v59, v81, v60 dst_sel:DWORD dst_unused:UNUSED_PAD src0_sel:DWORD src1_sel:WORD_1
	v_sub_f16_e32 v74, v65, v88
	v_sub_f16_e32 v75, v68, v93
	v_mul_f16_sdwa v76, v90, v62 dst_sel:DWORD dst_unused:UNUSED_PAD src0_sel:DWORD src1_sel:WORD_1
	v_sub_f16_e32 v10, v0, v10
	v_mul_f16_sdwa v72, v92, v61 dst_sel:DWORD dst_unused:UNUSED_PAD src0_sel:DWORD src1_sel:WORD_1
	v_fmac_f16_e32 v58, v81, v60
	v_fma_f16 v59, v87, v60, -v59
	v_fma_f16 v60, v65, 2.0, -v74
	v_fma_f16 v65, v68, 2.0, -v75
	v_mul_f16_sdwa v68, v85, v61 dst_sel:DWORD dst_unused:UNUSED_PAD src0_sel:DWORD src1_sel:WORD_1
	v_mul_f16_sdwa v77, v8, v62 dst_sel:DWORD dst_unused:UNUSED_PAD src0_sel:DWORD src1_sel:WORD_1
	v_fmac_f16_e32 v76, v8, v62
	v_add_f16_e32 v8, v74, v10
	v_fmac_f16_e32 v72, v85, v61
	v_fma_f16 v68, v92, v61, -v68
	v_fma_f16 v61, v90, v62, -v77
	v_sub_f16_e32 v65, v60, v65
	v_fma_f16 v62, v74, 2.0, -v8
	v_sub_f16_e32 v74, v27, v9
	v_fma_f16 v0, v0, 2.0, -v10
	v_sub_f16_e32 v9, v7, v11
	v_sub_f16_e32 v66, v94, v66
	v_fma_f16 v60, v60, 2.0, -v65
	v_fma_f16 v10, v27, 2.0, -v74
	s_barrier
	buffer_gl0_inv
	ds_write_b16 v49, v65 offset:1600
	v_sub_f16_e32 v11, v12, v14
	v_fma_f16 v7, v7, 2.0, -v9
	v_fma_f16 v14, v94, 2.0, -v66
	v_sub_f16_e32 v27, v10, v0
	v_sub_f16_e32 v0, v6, v69
	;; [unrolled: 1-line block ×3, first 2 shown]
	v_fma_f16 v69, v12, 2.0, -v11
	v_sub_f16_e32 v12, v7, v14
	v_sub_f16_e32 v14, v13, v55
	v_fma_f16 v6, v6, 2.0, -v0
	v_fma_f16 v54, v80, 2.0, -v65
	;; [unrolled: 1-line block ×3, first 2 shown]
	v_add_f16_e32 v10, v9, v11
	v_fma_f16 v79, v13, 2.0, -v14
	v_sub_f16_e32 v13, v5, v70
	v_sub_f16_e32 v11, v6, v54
	;; [unrolled: 1-line block ×6, first 2 shown]
	v_fma_f16 v5, v5, 2.0, -v13
	v_fma_f16 v55, v78, 2.0, -v70
	;; [unrolled: 1-line block ×3, first 2 shown]
	v_sub_f16_e32 v56, v59, v61
	v_fma_f16 v4, v4, 2.0, -v57
	v_fma_f16 v58, v58, 2.0, -v72
	ds_write_b16 v49, v8 offset:2400
	v_cndmask_b32_e64 v8, 0, 0xc80, s0
	v_add_f16_e32 v14, v0, v14
	v_sub_f16_e32 v55, v5, v55
	v_add_f16_e32 v54, v13, v54
	v_fma_f16 v76, v59, 2.0, -v56
	v_sub_f16_e32 v58, v4, v58
	v_add_f16_e32 v56, v57, v56
	v_fma_f16 v7, v7, 2.0, -v12
	v_fma_f16 v9, v9, 2.0, -v10
	v_fma_f16 v6, v6, 2.0, -v11
	v_add3_u32 v78, 0, v8, v15
	v_fma_f16 v0, v0, 2.0, -v14
	v_fma_f16 v5, v5, 2.0, -v55
	v_fma_f16 v13, v13, 2.0, -v54
	v_fma_f16 v4, v4, 2.0, -v58
	v_fma_f16 v57, v57, 2.0, -v56
	v_lshl_add_u32 v80, v16, 1, 0
	v_sub_f16_e32 v75, v74, v75
	ds_write_b16 v49, v60
	ds_write_b16 v49, v62 offset:800
	ds_write_b16 v17, v7
	ds_write_b16 v17, v9 offset:800
	ds_write_b16 v17, v12 offset:1600
	;; [unrolled: 1-line block ×3, first 2 shown]
	ds_write_b16 v78, v6
	ds_write_b16 v78, v0 offset:800
	ds_write_b16 v78, v11 offset:1600
	;; [unrolled: 1-line block ×11, first 2 shown]
	s_waitcnt lgkmcnt(0)
	s_barrier
	buffer_gl0_inv
	ds_read_u16 v4, v51
	v_lshl_add_u32 v61, v26, 1, 0
	ds_read_u16 v0, v49
	ds_read_u16 v13, v49 offset:3200
	ds_read_u16 v14, v49 offset:3520
	;; [unrolled: 1-line block ×7, first 2 shown]
	ds_read_u16 v5, v2
	ds_read_u16 v7, v61
	v_sub_f16_e32 v31, v64, v31
	v_lshl_add_u32 v62, v30, 1, 0
	ds_read_u16 v8, v3
	ds_read_u16 v9, v52
	ds_read_u16 v58, v49 offset:5440
	ds_read_u16 v59, v49 offset:5760
	ds_read_u16 v6, v17
	ds_read_u16 v11, v62
	v_fma_f16 v74, v74, 2.0, -v75
	ds_read_u16 v12, v50
	ds_read_u16 v10, v53
	ds_read_u16 v60, v49 offset:6080
	v_fma_f16 v64, v64, 2.0, -v31
	s_waitcnt lgkmcnt(0)
	s_barrier
	buffer_gl0_inv
	ds_write_b16 v49, v77
	ds_write_b16 v49, v74 offset:800
	ds_write_b16 v49, v27 offset:1600
	v_sub_f16_e32 v27, v31, v66
	v_sub_f16_e32 v69, v64, v69
	;; [unrolled: 1-line block ×5, first 2 shown]
	v_fma_f16 v31, v31, 2.0, -v27
	v_fma_f16 v64, v64, 2.0, -v69
	;; [unrolled: 1-line block ×3, first 2 shown]
	ds_write_b16 v49, v75 offset:2400
	v_fma_f16 v63, v63, 2.0, -v71
	ds_write_b16 v17, v31 offset:800
	v_fma_f16 v31, v67, 2.0, -v68
	ds_write_b16 v17, v64
	v_sub_f16_e32 v64, v66, v79
	v_sub_f16_e32 v65, v29, v65
	;; [unrolled: 1-line block ×6, first 2 shown]
	v_fma_f16 v66, v66, 2.0, -v64
	v_fma_f16 v29, v29, 2.0, -v65
	;; [unrolled: 1-line block ×6, first 2 shown]
	ds_write_b16 v17, v69 offset:1600
	ds_write_b16 v17, v27 offset:2400
	ds_write_b16 v78, v66
	ds_write_b16 v78, v29 offset:800
	ds_write_b16 v78, v64 offset:1600
	;; [unrolled: 1-line block ×11, first 2 shown]
	s_waitcnt lgkmcnt(0)
	s_barrier
	buffer_gl0_inv
	s_and_saveexec_b32 s0, vcc_lo
	s_cbranch_execz .LBB0_15
; %bb.14:
	v_mov_b32_e32 v31, v1
	v_mov_b32_e32 v29, v1
	v_mov_b32_e32 v27, v1
	v_mul_i32_i24_e32 v79, 0xffffffee, v20
	v_mul_hi_u32 v80, 0x51eb851f, v40
	v_lshlrev_b64 v[30:31], 2, v[30:31]
	v_lshlrev_b64 v[28:29], 2, v[28:29]
	v_mul_hi_u32 v81, 0x51eb851f, v38
	v_add_co_u32 v17, vcc_lo, s8, v30
	v_add_co_ci_u32_e32 v30, vcc_lo, s9, v31, vcc_lo
	v_add_co_u32 v63, vcc_lo, s8, v28
	v_add_co_ci_u32_e32 v64, vcc_lo, s9, v29, vcc_lo
	;; [unrolled: 2-line block ×3, first 2 shown]
	v_lshlrev_b64 v[30:31], 2, v[26:27]
	v_add_co_u32 v63, vcc_lo, 0x1800, v63
	v_mov_b32_e32 v26, v1
	v_add_co_ci_u32_e32 v64, vcc_lo, 0, v64, vcc_lo
	v_add_co_u32 v17, vcc_lo, s8, v30
	v_add_co_ci_u32_e32 v31, vcc_lo, s9, v31, vcc_lo
	v_lshlrev_b64 v[26:27], 2, v[25:26]
	v_add_co_u32 v30, vcc_lo, 0x1800, v17
	v_mov_b32_e32 v25, v1
	v_add_co_ci_u32_e32 v31, vcc_lo, 0, v31, vcc_lo
	v_add_co_u32 v17, vcc_lo, s8, v26
	v_add_co_ci_u32_e32 v27, vcc_lo, s9, v27, vcc_lo
	;; [unrolled: 6-line block ×5, first 2 shown]
	v_lshlrev_b64 v[21:22], 2, v[21:22]
	v_add_co_u32 v23, vcc_lo, 0x1800, v17
	v_add_co_ci_u32_e32 v24, vcc_lo, 0, v24, vcc_lo
	s_clause 0x6
	global_load_dword v71, v[28:29], off offset:216
	global_load_dword v72, v[63:64], off offset:216
	;; [unrolled: 1-line block ×7, first 2 shown]
	v_add_co_u32 v17, vcc_lo, s8, v21
	v_add_co_ci_u32_e32 v22, vcc_lo, s9, v22, vcc_lo
	v_mov_b32_e32 v21, v1
	v_add_co_u32 v69, vcc_lo, 0x1800, v17
	v_mov_b32_e32 v17, v1
	v_add_co_ci_u32_e32 v70, vcc_lo, 0, v22, vcc_lo
	v_lshlrev_b64 v[21:22], 2, v[20:21]
	v_mad_u64_u32 v[26:27], null, s2, v39, 0
	v_lshlrev_b64 v[23:24], 2, v[16:17]
	v_mad_u64_u32 v[28:29], null, s2, v44, 0
	v_add_co_u32 v1, vcc_lo, s8, v21
	v_add_co_ci_u32_e32 v17, vcc_lo, s9, v22, vcc_lo
	v_add_co_u32 v23, vcc_lo, s8, v23
	v_add_co_ci_u32_e32 v24, vcc_lo, s9, v24, vcc_lo
	;; [unrolled: 2-line block ×4, first 2 shown]
	s_clause 0x2
	global_load_dword v69, v[69:70], off offset:216
	global_load_dword v70, v[21:22], off offset:216
	;; [unrolled: 1-line block ×3, first 2 shown]
	v_add_co_u32 v1, vcc_lo, s12, v18
	v_mad_u64_u32 v[20:21], null, s2, v16, 0
	v_add_co_ci_u32_e32 v17, vcc_lo, s13, v19, vcc_lo
	v_mad_u64_u32 v[18:19], null, s2, v47, 0
	v_mad_u64_u32 v[22:23], null, s2, v41, 0
	;; [unrolled: 1-line block ×5, first 2 shown]
	ds_read_u16 v82, v3
	ds_read_u16 v83, v52
	;; [unrolled: 1-line block ×5, first 2 shown]
	ds_read_u16 v87, v49 offset:6080
	ds_read_u16 v88, v49 offset:5760
	;; [unrolled: 1-line block ×3, first 2 shown]
	ds_read_u16 v90, v62
	ds_read_u16 v91, v61
	;; [unrolled: 1-line block ×3, first 2 shown]
	ds_read_u16 v93, v49 offset:5120
	ds_read_u16 v94, v49 offset:4800
	;; [unrolled: 1-line block ×7, first 2 shown]
	ds_read_u16 v100, v49
	v_mov_b32_e32 v2, v21
	v_mov_b32_e32 v3, v19
	;; [unrolled: 1-line block ×3, first 2 shown]
	v_add_nc_u32_e32 v52, v48, v79
	v_mov_b32_e32 v23, v27
	v_mov_b32_e32 v21, v25
	v_mov_b32_e32 v25, v29
	v_mad_u64_u32 v[48:49], null, s3, v16, v[2:3]
	v_lshrrev_b32_e32 v16, 9, v80
	v_mad_u64_u32 v[49:50], null, s3, v47, v[3:4]
	v_mad_u64_u32 v[50:51], null, s3, v41, v[19:20]
	v_mov_b32_e32 v2, v66
	v_mov_b32_e32 v3, v68
	ds_read_u16 v79, v52
	v_mad_u64_u32 v[51:52], null, s3, v39, v[23:24]
	v_mad_u64_u32 v[52:53], null, s3, v44, v[25:26]
	;; [unrolled: 1-line block ×3, first 2 shown]
	v_lshrrev_b32_e32 v19, 9, v81
	v_mad_u32_u24 v53, 0x640, v16, v40
	v_mad_u64_u32 v[61:62], null, s3, v37, v[2:3]
	v_mad_u64_u32 v[2:3], null, s3, v43, v[3:4]
	;; [unrolled: 1-line block ×3, first 2 shown]
	v_mad_u32_u24 v62, 0x640, v19, v38
	v_mad_u64_u32 v[37:38], null, s2, v53, 0
	v_add_nc_u32_e32 v80, 0x640, v53
	v_mov_b32_e32 v29, v64
	v_mad_u64_u32 v[46:47], null, s3, v46, v[21:22]
	v_mov_b32_e32 v21, v48
	v_mov_b32_e32 v68, v2
	v_mad_u64_u32 v[2:3], null, s2, v80, 0
	v_mov_b32_e32 v19, v49
	v_mad_u64_u32 v[44:45], null, s3, v45, v[29:30]
	v_mov_b32_e32 v16, v38
	v_mov_b32_e32 v27, v31
	v_lshlrev_b64 v[20:21], 2, v[20:21]
	v_mov_b32_e32 v23, v50
	v_lshlrev_b64 v[18:19], 2, v[18:19]
	v_mov_b32_e32 v25, v46
	v_mad_u64_u32 v[49:50], null, s3, v53, v[16:17]
	v_mad_u64_u32 v[41:42], null, s3, v42, v[27:28]
	v_mov_b32_e32 v27, v51
	v_mad_u64_u32 v[50:51], null, s3, v80, v[3:4]
	v_lshlrev_b64 v[22:23], 2, v[22:23]
	v_add_co_u32 v20, vcc_lo, v1, v20
	v_mov_b32_e32 v64, v44
	v_mov_b32_e32 v66, v61
	v_add_co_ci_u32_e32 v21, vcc_lo, v17, v21, vcc_lo
	v_lshlrev_b64 v[24:25], 2, v[24:25]
	v_add_co_u32 v18, vcc_lo, v1, v18
	v_mov_b32_e32 v29, v52
	v_add_co_ci_u32_e32 v19, vcc_lo, v17, v19, vcc_lo
	v_lshlrev_b64 v[26:27], 2, v[26:27]
	v_lshlrev_b64 v[43:44], 2, v[63:64]
	v_lshlrev_b64 v[45:46], 2, v[65:66]
	v_add_co_u32 v22, vcc_lo, v1, v22
	v_mov_b32_e32 v31, v41
	v_add_co_ci_u32_e32 v23, vcc_lo, v17, v23, vcc_lo
	v_mov_b32_e32 v38, v49
	v_lshlrev_b64 v[28:29], 2, v[28:29]
	v_lshlrev_b64 v[47:48], 2, v[67:68]
	v_add_co_u32 v24, vcc_lo, v1, v24
	v_add_co_ci_u32_e32 v25, vcc_lo, v17, v25, vcc_lo
	v_lshlrev_b64 v[30:31], 2, v[30:31]
	v_add_co_u32 v26, vcc_lo, v1, v26
	v_add_co_ci_u32_e32 v27, vcc_lo, v17, v27, vcc_lo
	v_add_co_u32 v28, vcc_lo, v1, v28
	v_add_co_ci_u32_e32 v29, vcc_lo, v17, v29, vcc_lo
	;; [unrolled: 2-line block ×3, first 2 shown]
	v_mad_u64_u32 v[39:40], null, s2, v62, 0
	v_add_co_u32 v43, vcc_lo, v1, v43
	v_add_co_ci_u32_e32 v44, vcc_lo, v17, v44, vcc_lo
	v_add_nc_u32_e32 v81, 0x640, v62
	v_add_co_u32 v45, vcc_lo, v1, v45
	v_add_co_ci_u32_e32 v46, vcc_lo, v17, v46, vcc_lo
	v_add_co_u32 v47, vcc_lo, v1, v47
	v_mad_u64_u32 v[41:42], null, s2, v81, 0
	v_add_co_ci_u32_e32 v48, vcc_lo, v17, v48, vcc_lo
	s_waitcnt vmcnt(9) lgkmcnt(14)
	v_mul_f16_sdwa v3, v71, v87 dst_sel:DWORD dst_unused:UNUSED_PAD src0_sel:WORD_1 src1_sel:DWORD
	v_mul_f16_sdwa v16, v60, v71 dst_sel:DWORD dst_unused:UNUSED_PAD src0_sel:DWORD src1_sel:WORD_1
	s_waitcnt vmcnt(8) lgkmcnt(13)
	v_mul_f16_sdwa v49, v72, v88 dst_sel:DWORD dst_unused:UNUSED_PAD src0_sel:WORD_1 src1_sel:DWORD
	s_waitcnt vmcnt(6) lgkmcnt(8)
	v_mul_f16_sdwa v61, v74, v93 dst_sel:DWORD dst_unused:UNUSED_PAD src0_sel:WORD_1 src1_sel:DWORD
	;; [unrolled: 2-line block ×3, first 2 shown]
	v_fmac_f16_e32 v3, v60, v71
	s_waitcnt vmcnt(4) lgkmcnt(6)
	v_mul_f16_sdwa v66, v76, v95 dst_sel:DWORD dst_unused:UNUSED_PAD src0_sel:WORD_1 src1_sel:DWORD
	v_mul_f16_sdwa v52, v73, v89 dst_sel:DWORD dst_unused:UNUSED_PAD src0_sel:WORD_1 src1_sel:DWORD
	v_mul_f16_sdwa v65, v56, v75 dst_sel:DWORD dst_unused:UNUSED_PAD src0_sel:DWORD src1_sel:WORD_1
	v_mul_f16_sdwa v67, v55, v76 dst_sel:DWORD dst_unused:UNUSED_PAD src0_sel:DWORD src1_sel:WORD_1
	s_waitcnt vmcnt(3) lgkmcnt(5)
	v_mul_f16_sdwa v68, v77, v96 dst_sel:DWORD dst_unused:UNUSED_PAD src0_sel:WORD_1 src1_sel:DWORD
	v_mul_f16_sdwa v80, v54, v77 dst_sel:DWORD dst_unused:UNUSED_PAD src0_sel:DWORD src1_sel:WORD_1
	v_fmac_f16_e32 v61, v57, v74
	v_fmac_f16_e32 v64, v56, v75
	;; [unrolled: 1-line block ×3, first 2 shown]
	v_mul_f16_sdwa v63, v57, v74 dst_sel:DWORD dst_unused:UNUSED_PAD src0_sel:DWORD src1_sel:WORD_1
	v_fmac_f16_e32 v49, v59, v72
	v_fmac_f16_e32 v52, v58, v73
	v_fma_f16 v56, v75, v94, -v65
	v_fma_f16 v55, v76, v95, -v67
	v_fmac_f16_e32 v68, v54, v77
	v_fma_f16 v54, v77, v96, -v80
	v_mul_f16_sdwa v51, v59, v72 dst_sel:DWORD dst_unused:UNUSED_PAD src0_sel:DWORD src1_sel:WORD_1
	v_mul_f16_sdwa v53, v58, v73 dst_sel:DWORD dst_unused:UNUSED_PAD src0_sel:DWORD src1_sel:WORD_1
	v_sub_f16_e32 v58, v11, v3
	v_sub_f16_e32 v59, v4, v61
	;; [unrolled: 1-line block ×3, first 2 shown]
	v_fma_f16 v57, v74, v93, -v63
	v_sub_f16_e32 v49, v9, v49
	v_sub_f16_e32 v52, v7, v52
	v_sub_f16_e32 v55, v85, v55
	v_sub_f16_e32 v61, v5, v68
	v_sub_f16_e32 v54, v92, v54
	v_fma_f16 v51, v72, v88, -v51
	v_fma_f16 v72, v4, 2.0, -v59
	v_fma_f16 v4, v12, 2.0, -v3
	;; [unrolled: 1-line block ×4, first 2 shown]
	s_waitcnt vmcnt(2) lgkmcnt(4)
	v_mul_f16_sdwa v101, v69, v97 dst_sel:DWORD dst_unused:UNUSED_PAD src0_sel:WORD_1 src1_sel:DWORD
	s_waitcnt vmcnt(1) lgkmcnt(3)
	v_mul_f16_sdwa v103, v70, v98 dst_sel:DWORD dst_unused:UNUSED_PAD src0_sel:WORD_1 src1_sel:DWORD
	;; [unrolled: 2-line block ×3, first 2 shown]
	v_mul_f16_sdwa v60, v13, v78 dst_sel:DWORD dst_unused:UNUSED_PAD src0_sel:DWORD src1_sel:WORD_1
	v_mul_f16_sdwa v104, v14, v70 dst_sel:DWORD dst_unused:UNUSED_PAD src0_sel:DWORD src1_sel:WORD_1
	;; [unrolled: 1-line block ×3, first 2 shown]
	v_fmac_f16_e32 v103, v14, v70
	v_fmac_f16_e32 v105, v13, v78
	v_fma_f16 v13, v78, v99, -v60
	v_fma_f16 v14, v70, v98, -v104
	v_fmac_f16_e32 v101, v15, v69
	v_fma_f16 v15, v69, v97, -v102
	v_sub_f16_e32 v65, v0, v105
	s_waitcnt lgkmcnt(1)
	v_sub_f16_e32 v13, v100, v13
	v_sub_f16_e32 v60, v8, v64
	;; [unrolled: 1-line block ×3, first 2 shown]
	s_waitcnt lgkmcnt(0)
	v_sub_f16_e32 v14, v79, v14
	v_sub_f16_e32 v63, v10, v101
	;; [unrolled: 1-line block ×3, first 2 shown]
	v_fma_f16 v0, v0, 2.0, -v65
	v_fma_f16 v75, v100, 2.0, -v13
	;; [unrolled: 1-line block ×11, first 2 shown]
	v_pack_b32_f16 v0, v0, v75
	v_pack_b32_f16 v13, v65, v13
	;; [unrolled: 1-line block ×10, first 2 shown]
	global_store_dword v[20:21], v0, off
	global_store_dword v[18:19], v13, off
	global_store_dword v[22:23], v6, off
	global_store_dword v[24:25], v14, off
	global_store_dword v[26:27], v9, off
	global_store_dword v[28:29], v15, off
	global_store_dword v[30:31], v5, off
	global_store_dword v[43:44], v54, off
	global_store_dword v[45:46], v4, off
	global_store_dword v[47:48], v3, off
	v_mov_b32_e32 v0, v40
	v_mov_b32_e32 v6, v42
	;; [unrolled: 1-line block ×3, first 2 shown]
	v_sub_f16_e32 v56, v82, v56
	v_lshlrev_b64 v[4:5], 2, v[37:38]
	v_mad_u64_u32 v[7:8], null, s3, v62, v[0:1]
	v_lshlrev_b64 v[2:3], 2, v[2:3]
	v_fma_f16 v74, v82, 2.0, -v56
	v_sub_f16_e32 v57, v84, v57
	v_add_co_u32 v4, vcc_lo, v1, v4
	v_add_co_ci_u32_e32 v5, vcc_lo, v17, v5, vcc_lo
	v_mad_u64_u32 v[8:9], null, s3, v81, v[6:7]
	v_mad_u64_u32 v[9:10], null, s2, v36, 0
	v_mov_b32_e32 v40, v7
	v_pack_b32_f16 v15, v11, v74
	v_add_co_u32 v2, vcc_lo, v1, v2
	v_mov_b32_e32 v42, v8
	v_lshlrev_b64 v[6:7], 2, v[39:40]
	v_mov_b32_e32 v0, v10
	v_fma_f16 v53, v73, v89, -v53
	v_fma_f16 v73, v84, 2.0, -v57
	v_lshlrev_b64 v[10:11], 2, v[41:42]
	v_add_co_ci_u32_e32 v3, vcc_lo, v17, v3, vcc_lo
	v_mad_u64_u32 v[12:13], null, s3, v36, v[0:1]
	v_add_co_u32 v6, vcc_lo, v1, v6
	v_add_co_ci_u32_e32 v7, vcc_lo, v17, v7, vcc_lo
	v_pack_b32_f16 v8, v60, v56
	v_add_co_u32 v13, vcc_lo, v1, v10
	v_pack_b32_f16 v0, v72, v73
	v_add_co_ci_u32_e32 v14, vcc_lo, v17, v11, vcc_lo
	v_pack_b32_f16 v11, v59, v57
	v_mov_b32_e32 v10, v12
	global_store_dword v[4:5], v15, off
	global_store_dword v[2:3], v8, off
	;; [unrolled: 1-line block ×4, first 2 shown]
	v_mad_u64_u32 v[4:5], null, s2, v35, 0
	v_mad_u64_u32 v[6:7], null, s2, v32, 0
	v_lshlrev_b64 v[2:3], 2, v[9:10]
	v_mul_hi_u32 v10, 0x51eb851f, v33
	v_sub_f16_e32 v53, v91, v53
	v_fma_f16 v16, v71, v87, -v16
	v_mov_b32_e32 v0, v5
	v_mad_u64_u32 v[8:9], null, s2, v34, 0
	v_mov_b32_e32 v5, v7
	v_fma_f16 v71, v91, 2.0, -v53
	v_lshrrev_b32_e32 v12, 9, v10
	v_mad_u64_u32 v[10:11], null, s3, v35, v[0:1]
	v_add_co_u32 v2, vcc_lo, v1, v2
	v_mad_u32_u24 v14, 0x640, v12, v33
	v_mad_u64_u32 v[11:12], null, s3, v32, v[5:6]
	v_add_co_ci_u32_e32 v3, vcc_lo, v17, v3, vcc_lo
	v_pack_b32_f16 v7, v70, v71
	v_mad_u64_u32 v[12:13], null, s2, v14, 0
	v_mov_b32_e32 v5, v10
	v_add_nc_u32_e32 v15, 0x640, v14
	v_mov_b32_e32 v0, v9
	global_store_dword v[2:3], v7, off
	v_mov_b32_e32 v7, v11
	v_lshlrev_b64 v[2:3], 2, v[4:5]
	v_mad_u64_u32 v[4:5], null, s2, v15, 0
	v_mad_u64_u32 v[9:10], null, s3, v34, v[0:1]
	v_mov_b32_e32 v0, v13
	v_add_co_u32 v2, vcc_lo, v1, v2
	v_add_co_ci_u32_e32 v3, vcc_lo, v17, v3, vcc_lo
	v_mad_u64_u32 v[10:11], null, s3, v14, v[0:1]
	v_mov_b32_e32 v0, v5
	v_lshlrev_b64 v[5:6], 2, v[6:7]
	v_lshlrev_b64 v[7:8], 2, v[8:9]
	v_sub_f16_e32 v51, v83, v51
	v_sub_f16_e32 v16, v90, v16
	v_mad_u64_u32 v[14:15], null, s3, v15, v[0:1]
	v_mov_b32_e32 v13, v10
	v_add_co_u32 v9, vcc_lo, v1, v5
	v_add_co_ci_u32_e32 v10, vcc_lo, v17, v6, vcc_lo
	v_lshlrev_b64 v[11:12], 2, v[12:13]
	v_mov_b32_e32 v5, v14
	v_fma_f16 v69, v83, 2.0, -v51
	v_add_co_u32 v6, vcc_lo, v1, v7
	v_fma_f16 v67, v90, 2.0, -v16
	v_lshlrev_b64 v[4:5], 2, v[4:5]
	v_add_co_ci_u32_e32 v7, vcc_lo, v17, v8, vcc_lo
	v_add_co_u32 v11, vcc_lo, v1, v11
	v_pack_b32_f16 v18, v52, v53
	v_pack_b32_f16 v15, v68, v69
	v_add_co_ci_u32_e32 v12, vcc_lo, v17, v12, vcc_lo
	v_pack_b32_f16 v8, v49, v51
	v_add_co_u32 v0, vcc_lo, v1, v4
	v_pack_b32_f16 v13, v66, v67
	v_add_co_ci_u32_e32 v1, vcc_lo, v17, v5, vcc_lo
	v_pack_b32_f16 v4, v58, v16
	global_store_dword v[2:3], v18, off
	global_store_dword v[9:10], v15, off
	;; [unrolled: 1-line block ×5, first 2 shown]
.LBB0_15:
	s_endpgm
	.section	.rodata,"a",@progbits
	.p2align	6, 0x0
	.amdhsa_kernel fft_rtc_back_len3200_factors_10_10_4_4_2_wgs_160_tpt_160_halfLds_half_ip_CI_sbrr_dirReg
		.amdhsa_group_segment_fixed_size 0
		.amdhsa_private_segment_fixed_size 0
		.amdhsa_kernarg_size 88
		.amdhsa_user_sgpr_count 6
		.amdhsa_user_sgpr_private_segment_buffer 1
		.amdhsa_user_sgpr_dispatch_ptr 0
		.amdhsa_user_sgpr_queue_ptr 0
		.amdhsa_user_sgpr_kernarg_segment_ptr 1
		.amdhsa_user_sgpr_dispatch_id 0
		.amdhsa_user_sgpr_flat_scratch_init 0
		.amdhsa_user_sgpr_private_segment_size 0
		.amdhsa_wavefront_size32 1
		.amdhsa_uses_dynamic_stack 0
		.amdhsa_system_sgpr_private_segment_wavefront_offset 0
		.amdhsa_system_sgpr_workgroup_id_x 1
		.amdhsa_system_sgpr_workgroup_id_y 0
		.amdhsa_system_sgpr_workgroup_id_z 0
		.amdhsa_system_sgpr_workgroup_info 0
		.amdhsa_system_vgpr_workitem_id 0
		.amdhsa_next_free_vgpr 106
		.amdhsa_next_free_sgpr 23
		.amdhsa_reserve_vcc 1
		.amdhsa_reserve_flat_scratch 0
		.amdhsa_float_round_mode_32 0
		.amdhsa_float_round_mode_16_64 0
		.amdhsa_float_denorm_mode_32 3
		.amdhsa_float_denorm_mode_16_64 3
		.amdhsa_dx10_clamp 1
		.amdhsa_ieee_mode 1
		.amdhsa_fp16_overflow 0
		.amdhsa_workgroup_processor_mode 1
		.amdhsa_memory_ordered 1
		.amdhsa_forward_progress 0
		.amdhsa_shared_vgpr_count 0
		.amdhsa_exception_fp_ieee_invalid_op 0
		.amdhsa_exception_fp_denorm_src 0
		.amdhsa_exception_fp_ieee_div_zero 0
		.amdhsa_exception_fp_ieee_overflow 0
		.amdhsa_exception_fp_ieee_underflow 0
		.amdhsa_exception_fp_ieee_inexact 0
		.amdhsa_exception_int_div_zero 0
	.end_amdhsa_kernel
	.text
.Lfunc_end0:
	.size	fft_rtc_back_len3200_factors_10_10_4_4_2_wgs_160_tpt_160_halfLds_half_ip_CI_sbrr_dirReg, .Lfunc_end0-fft_rtc_back_len3200_factors_10_10_4_4_2_wgs_160_tpt_160_halfLds_half_ip_CI_sbrr_dirReg
                                        ; -- End function
	.section	.AMDGPU.csdata,"",@progbits
; Kernel info:
; codeLenInByte = 14712
; NumSgprs: 25
; NumVgprs: 106
; ScratchSize: 0
; MemoryBound: 0
; FloatMode: 240
; IeeeMode: 1
; LDSByteSize: 0 bytes/workgroup (compile time only)
; SGPRBlocks: 3
; VGPRBlocks: 13
; NumSGPRsForWavesPerEU: 25
; NumVGPRsForWavesPerEU: 106
; Occupancy: 9
; WaveLimiterHint : 1
; COMPUTE_PGM_RSRC2:SCRATCH_EN: 0
; COMPUTE_PGM_RSRC2:USER_SGPR: 6
; COMPUTE_PGM_RSRC2:TRAP_HANDLER: 0
; COMPUTE_PGM_RSRC2:TGID_X_EN: 1
; COMPUTE_PGM_RSRC2:TGID_Y_EN: 0
; COMPUTE_PGM_RSRC2:TGID_Z_EN: 0
; COMPUTE_PGM_RSRC2:TIDIG_COMP_CNT: 0
	.text
	.p2alignl 6, 3214868480
	.fill 48, 4, 3214868480
	.type	__hip_cuid_13ab6b03684ef120,@object ; @__hip_cuid_13ab6b03684ef120
	.section	.bss,"aw",@nobits
	.globl	__hip_cuid_13ab6b03684ef120
__hip_cuid_13ab6b03684ef120:
	.byte	0                               ; 0x0
	.size	__hip_cuid_13ab6b03684ef120, 1

	.ident	"AMD clang version 19.0.0git (https://github.com/RadeonOpenCompute/llvm-project roc-6.4.0 25133 c7fe45cf4b819c5991fe208aaa96edf142730f1d)"
	.section	".note.GNU-stack","",@progbits
	.addrsig
	.addrsig_sym __hip_cuid_13ab6b03684ef120
	.amdgpu_metadata
---
amdhsa.kernels:
  - .args:
      - .actual_access:  read_only
        .address_space:  global
        .offset:         0
        .size:           8
        .value_kind:     global_buffer
      - .offset:         8
        .size:           8
        .value_kind:     by_value
      - .actual_access:  read_only
        .address_space:  global
        .offset:         16
        .size:           8
        .value_kind:     global_buffer
      - .actual_access:  read_only
        .address_space:  global
        .offset:         24
        .size:           8
        .value_kind:     global_buffer
      - .offset:         32
        .size:           8
        .value_kind:     by_value
      - .actual_access:  read_only
        .address_space:  global
        .offset:         40
        .size:           8
        .value_kind:     global_buffer
      - .actual_access:  read_only
        .address_space:  global
        .offset:         48
        .size:           8
        .value_kind:     global_buffer
      - .offset:         56
        .size:           4
        .value_kind:     by_value
      - .actual_access:  read_only
        .address_space:  global
        .offset:         64
        .size:           8
        .value_kind:     global_buffer
      - .actual_access:  read_only
        .address_space:  global
        .offset:         72
        .size:           8
        .value_kind:     global_buffer
      - .address_space:  global
        .offset:         80
        .size:           8
        .value_kind:     global_buffer
    .group_segment_fixed_size: 0
    .kernarg_segment_align: 8
    .kernarg_segment_size: 88
    .language:       OpenCL C
    .language_version:
      - 2
      - 0
    .max_flat_workgroup_size: 160
    .name:           fft_rtc_back_len3200_factors_10_10_4_4_2_wgs_160_tpt_160_halfLds_half_ip_CI_sbrr_dirReg
    .private_segment_fixed_size: 0
    .sgpr_count:     25
    .sgpr_spill_count: 0
    .symbol:         fft_rtc_back_len3200_factors_10_10_4_4_2_wgs_160_tpt_160_halfLds_half_ip_CI_sbrr_dirReg.kd
    .uniform_work_group_size: 1
    .uses_dynamic_stack: false
    .vgpr_count:     106
    .vgpr_spill_count: 0
    .wavefront_size: 32
    .workgroup_processor_mode: 1
amdhsa.target:   amdgcn-amd-amdhsa--gfx1030
amdhsa.version:
  - 1
  - 2
...

	.end_amdgpu_metadata
